;; amdgpu-corpus repo=ROCm/rocFFT kind=compiled arch=gfx950 opt=O3
	.text
	.amdgcn_target "amdgcn-amd-amdhsa--gfx950"
	.amdhsa_code_object_version 6
	.protected	bluestein_single_back_len2560_dim1_dp_op_CI_CI ; -- Begin function bluestein_single_back_len2560_dim1_dp_op_CI_CI
	.globl	bluestein_single_back_len2560_dim1_dp_op_CI_CI
	.p2align	8
	.type	bluestein_single_back_len2560_dim1_dp_op_CI_CI,@function
bluestein_single_back_len2560_dim1_dp_op_CI_CI: ; @bluestein_single_back_len2560_dim1_dp_op_CI_CI
; %bb.0:
	s_load_dwordx4 s[12:15], s[0:1], 0x28
	v_mov_b32_e32 v43, v0
	s_mov_b32 s3, 0
	s_waitcnt lgkmcnt(0)
	v_mov_b32_e32 v0, s12
	v_mov_b32_e32 v1, s13
	v_cmp_lt_u64_e32 vcc, s[2:3], v[0:1]
	s_and_saveexec_b64 s[4:5], vcc
	s_cbranch_execz .LBB0_2
; %bb.1:
	s_load_dwordx4 s[4:7], s[0:1], 0x0
	s_load_dwordx4 s[8:11], s[0:1], 0x18
	s_load_dwordx2 s[12:13], s[0:1], 0x38
	v_mov_b64_e32 v[0:1], s[2:3]
	v_mov_b32_e32 v2, s14
	v_mov_b32_e32 v3, s15
	s_waitcnt lgkmcnt(0)
	s_load_dwordx4 s[0:3], s[10:11], 0x0
	v_mov_b32_e32 v4, s12
	v_mov_b32_e32 v5, s13
	v_accvgpr_write_b32 a0, v4
	v_accvgpr_write_b32 a1, v5
	s_waitcnt lgkmcnt(0)
	v_mad_u64_u32 v[6:7], s[10:11], s2, v0, 0
	s_load_dwordx4 s[8:11], s[8:9], 0x0
	v_mov_b32_e32 v4, v7
	v_mad_u64_u32 v[4:5], s[2:3], s3, v0, v[4:5]
	v_mov_b32_e32 v7, v4
	v_accvgpr_write_b32 a2, v6
	s_waitcnt lgkmcnt(0)
	v_mad_u64_u32 v[4:5], s[2:3], s10, v0, 0
	v_accvgpr_write_b32 a3, v7
	v_mov_b32_e32 v6, v5
	v_mad_u64_u32 v[0:1], s[2:3], s11, v0, v[6:7]
	v_mov_b32_e32 v5, v0
	v_mad_u64_u32 v[0:1], s[2:3], s8, v43, 0
	;; [unrolled: 2-line block ×3, first 2 shown]
	v_mov_b32_e32 v1, v6
	v_lshl_add_u64 v[2:3], v[4:5], 4, v[2:3]
	v_lshl_add_u64 v[8:9], v[0:1], 4, v[2:3]
	v_lshlrev_b32_e32 v35, 4, v43
	global_load_dwordx4 v[0:3], v[8:9], off
	global_load_dwordx4 v[10:13], v35, s[4:5]
	v_mov_b32_e32 v46, 0x2800
	v_mad_u64_u32 v[8:9], s[2:3], s8, v46, v[8:9]
	s_mul_i32 s2, s9, 0x2800
	s_nop 0
	v_add_u32_e32 v9, s2, v9
	s_add_u32 s14, s4, 0xa000
	s_mul_i32 s3, s9, 0xffff9000
	s_addc_u32 s15, s5, 0
	s_sub_i32 s3, s3, s8
	v_or_b32_e32 v34, 0x80, v43
	v_lshlrev_b32_e32 v47, 6, v43
	s_mov_b32 s13, 0xbfe2cf23
	s_mov_b32 s16, 0x9b97f4a8
	;; [unrolled: 1-line block ×6, first 2 shown]
	s_movk_i32 s24, 0x3000
	s_movk_i32 s23, 0x5000
	;; [unrolled: 1-line block ×3, first 2 shown]
	s_mov_b32 s22, 0x8000
	s_waitcnt vmcnt(0)
	v_accvgpr_write_b32 a23, v13
	v_mul_f64 v[4:5], v[2:3], v[12:13]
	v_fmac_f64_e32 v[4:5], v[0:1], v[10:11]
	v_mul_f64 v[0:1], v[0:1], v[12:13]
	v_fma_f64 v[6:7], v[2:3], v[10:11], -v[0:1]
	ds_write_b128 v35, v[4:7]
	v_or_b32_e32 v4, 0x2800, v35
	v_accvgpr_write_b32 a22, v12
	v_accvgpr_write_b32 a21, v11
	;; [unrolled: 1-line block ×3, first 2 shown]
	global_load_dwordx4 v[0:3], v[8:9], off
	global_load_dwordx4 v[10:13], v4, s[4:5]
	v_accvgpr_write_b32 a68, v4
	v_mad_u64_u32 v[8:9], s[10:11], s8, v46, v[8:9]
	v_add_u32_e32 v9, s2, v9
	s_waitcnt vmcnt(0)
	v_mul_f64 v[4:5], v[2:3], v[12:13]
	v_fmac_f64_e32 v[4:5], v[0:1], v[10:11]
	v_mul_f64 v[0:1], v[0:1], v[12:13]
	v_fma_f64 v[6:7], v[2:3], v[10:11], -v[0:1]
	v_accvgpr_write_b32 a31, v13
	ds_write_b128 v35, v[4:7] offset:10240
	v_or_b32_e32 v4, 0x5000, v35
	v_accvgpr_write_b32 a30, v12
	v_accvgpr_write_b32 a29, v11
	;; [unrolled: 1-line block ×3, first 2 shown]
	global_load_dwordx4 v[0:3], v[8:9], off
	global_load_dwordx4 v[10:13], v4, s[4:5]
	v_accvgpr_write_b32 a69, v4
	v_mad_u64_u32 v[8:9], s[10:11], s8, v46, v[8:9]
	v_add_u32_e32 v9, s2, v9
	s_waitcnt vmcnt(0)
	v_mul_f64 v[4:5], v[2:3], v[12:13]
	v_fmac_f64_e32 v[4:5], v[0:1], v[10:11]
	v_mul_f64 v[0:1], v[0:1], v[12:13]
	v_fma_f64 v[6:7], v[2:3], v[10:11], -v[0:1]
	v_accvgpr_write_b32 a39, v13
	ds_write_b128 v35, v[4:7] offset:20480
	v_or_b32_e32 v4, 0x7800, v35
	v_accvgpr_write_b32 a38, v12
	v_accvgpr_write_b32 a37, v11
	;; [unrolled: 1-line block ×3, first 2 shown]
	global_load_dwordx4 v[0:3], v[8:9], off
	global_load_dwordx4 v[10:13], v4, s[4:5]
	v_accvgpr_write_b32 a70, v4
	s_waitcnt vmcnt(0)
	v_mul_f64 v[4:5], v[2:3], v[12:13]
	v_fmac_f64_e32 v[4:5], v[0:1], v[10:11]
	v_mul_f64 v[0:1], v[0:1], v[12:13]
	v_fma_f64 v[6:7], v[2:3], v[10:11], -v[0:1]
	v_mov_b32_e32 v0, 0xffff9000
	v_mad_u64_u32 v[8:9], s[10:11], s8, v0, v[8:9]
	ds_write_b128 v35, v[4:7] offset:30720
	v_add_u32_e32 v9, s3, v9
	global_load_dwordx4 v[0:3], v[8:9], off
	global_load_dwordx4 v[14:17], v35, s[4:5] offset:2048
	v_mad_u64_u32 v[8:9], s[10:11], s8, v46, v[8:9]
	v_add_u32_e32 v9, s2, v9
	v_accvgpr_write_b32 a43, v13
	v_accvgpr_write_b32 a42, v12
	;; [unrolled: 1-line block ×4, first 2 shown]
	v_mov_b32_e32 v12, 0xffff9000
	s_waitcnt vmcnt(0)
	v_mul_f64 v[4:5], v[2:3], v[16:17]
	v_fmac_f64_e32 v[4:5], v[0:1], v[14:15]
	v_mul_f64 v[0:1], v[0:1], v[16:17]
	v_fma_f64 v[6:7], v[2:3], v[14:15], -v[0:1]
	v_accvgpr_write_b32 a12, v14
	ds_write_b128 v35, v[4:7] offset:2048
	v_or_b32_e32 v4, 0x3000, v35
	v_accvgpr_write_b32 a13, v15
	v_accvgpr_write_b32 a14, v16
	;; [unrolled: 1-line block ×3, first 2 shown]
	global_load_dwordx4 v[0:3], v[8:9], off
	global_load_dwordx4 v[14:17], v4, s[4:5]
	v_accvgpr_write_b32 a65, v4
	v_mad_u64_u32 v[8:9], s[10:11], s8, v46, v[8:9]
	v_add_u32_e32 v9, s2, v9
	s_waitcnt vmcnt(0)
	v_mul_f64 v[4:5], v[2:3], v[16:17]
	v_fmac_f64_e32 v[4:5], v[0:1], v[14:15]
	v_mul_f64 v[0:1], v[0:1], v[16:17]
	v_fma_f64 v[6:7], v[2:3], v[14:15], -v[0:1]
	v_accvgpr_write_b32 a4, v14
	ds_write_b128 v35, v[4:7] offset:12288
	v_or_b32_e32 v4, 0x5800, v35
	v_accvgpr_write_b32 a5, v15
	v_accvgpr_write_b32 a6, v16
	;; [unrolled: 1-line block ×3, first 2 shown]
	global_load_dwordx4 v[0:3], v[8:9], off
	global_load_dwordx4 v[14:17], v4, s[4:5]
	v_accvgpr_write_b32 a66, v4
	v_mad_u64_u32 v[8:9], s[10:11], s8, v46, v[8:9]
	v_add_u32_e32 v9, s2, v9
	v_mad_u64_u32 v[10:11], s[10:11], s8, v12, v[8:9]
	v_add_u32_e32 v11, s3, v11
	s_waitcnt vmcnt(0)
	v_mul_f64 v[4:5], v[2:3], v[16:17]
	v_fmac_f64_e32 v[4:5], v[0:1], v[14:15]
	v_mul_f64 v[0:1], v[0:1], v[16:17]
	v_fma_f64 v[6:7], v[2:3], v[14:15], -v[0:1]
	v_accvgpr_write_b32 a8, v14
	ds_write_b128 v35, v[4:7] offset:22528
	v_or_b32_e32 v4, 0x8000, v35
	v_accvgpr_write_b32 a9, v15
	v_accvgpr_write_b32 a10, v16
	;; [unrolled: 1-line block ×3, first 2 shown]
	global_load_dwordx4 v[0:3], v[8:9], off
	global_load_dwordx4 v[14:17], v4, s[4:5]
	v_accvgpr_write_b32 a67, v4
	s_waitcnt vmcnt(0)
	v_mul_f64 v[4:5], v[2:3], v[16:17]
	v_fmac_f64_e32 v[4:5], v[0:1], v[14:15]
	v_mul_f64 v[0:1], v[0:1], v[16:17]
	v_fma_f64 v[6:7], v[2:3], v[14:15], -v[0:1]
	v_or_b32_e32 v0, 0x100, v43
	v_lshlrev_b32_e32 v1, 4, v0
	ds_write_b128 v35, v[4:7] offset:32768
	global_load_dwordx4 v[2:5], v[10:11], off
	global_load_dwordx4 v[50:53], v1, s[4:5]
	v_mad_u64_u32 v[10:11], s[10:11], s8, v46, v[10:11]
	v_accvgpr_write_b32 a71, v1
	v_add_u32_e32 v11, s2, v11
	v_or_b32_e32 v1, 0x3800, v35
	global_load_dwordx4 v[54:57], v1, s[4:5]
	v_accvgpr_write_b32 a73, v1
	v_or_b32_e32 v1, 0x6000, v35
	global_load_dwordx4 v[58:61], v1, s[4:5]
	v_accvgpr_write_b32 a74, v1
	;; [unrolled: 3-line block ×3, first 2 shown]
	v_or_b32_e32 v1, 0x180, v43
	v_accvgpr_write_b32 a19, v17
	v_accvgpr_write_b32 a18, v16
	;; [unrolled: 1-line block ×4, first 2 shown]
	s_waitcnt vmcnt(3)
	v_mul_f64 v[6:7], v[4:5], v[52:53]
	v_fmac_f64_e32 v[6:7], v[2:3], v[50:51]
	v_mul_f64 v[2:3], v[2:3], v[52:53]
	v_fma_f64 v[8:9], v[4:5], v[50:51], -v[2:3]
	global_load_dwordx4 v[2:5], v[10:11], off
	ds_write_b128 v35, v[6:9] offset:4096
	v_mad_u64_u32 v[10:11], s[10:11], s8, v46, v[10:11]
	v_add_u32_e32 v11, s2, v11
	s_waitcnt vmcnt(0)
	v_mul_f64 v[6:7], v[4:5], v[56:57]
	v_fmac_f64_e32 v[6:7], v[2:3], v[54:55]
	v_mul_f64 v[2:3], v[2:3], v[56:57]
	v_fma_f64 v[8:9], v[4:5], v[54:55], -v[2:3]
	global_load_dwordx4 v[2:5], v[10:11], off
	ds_write_b128 v35, v[6:9] offset:14336
	v_mad_u64_u32 v[10:11], s[10:11], s8, v46, v[10:11]
	v_add_u32_e32 v11, s2, v11
	;; [unrolled: 9-line block ×3, first 2 shown]
	s_waitcnt vmcnt(0)
	v_mul_f64 v[6:7], v[4:5], v[64:65]
	v_fmac_f64_e32 v[6:7], v[2:3], v[62:63]
	v_mul_f64 v[2:3], v[2:3], v[64:65]
	v_fma_f64 v[8:9], v[4:5], v[62:63], -v[2:3]
	ds_write_b128 v35, v[6:9] offset:34816
	v_lshlrev_b32_e32 v6, 4, v1
	global_load_dwordx4 v[2:5], v[10:11], off
	global_load_dwordx4 v[66:69], v6, s[4:5]
	v_accvgpr_write_b32 a76, v6
	v_mad_u64_u32 v[10:11], s[10:11], s8, v46, v[10:11]
	v_add_u32_e32 v11, s2, v11
	s_waitcnt vmcnt(0)
	v_mul_f64 v[6:7], v[4:5], v[68:69]
	v_fmac_f64_e32 v[6:7], v[2:3], v[66:67]
	v_mul_f64 v[2:3], v[2:3], v[68:69]
	v_fma_f64 v[8:9], v[4:5], v[66:67], -v[2:3]
	ds_write_b128 v35, v[6:9] offset:6144
	v_or_b32_e32 v6, 0x4000, v35
	global_load_dwordx4 v[2:5], v[10:11], off
	global_load_dwordx4 v[70:73], v6, s[4:5]
	v_accvgpr_write_b32 a78, v6
	v_mad_u64_u32 v[10:11], s[10:11], s8, v46, v[10:11]
	v_add_u32_e32 v11, s2, v11
	s_waitcnt vmcnt(0)
	v_mul_f64 v[6:7], v[4:5], v[72:73]
	v_fmac_f64_e32 v[6:7], v[2:3], v[70:71]
	v_mul_f64 v[2:3], v[2:3], v[72:73]
	v_fma_f64 v[8:9], v[4:5], v[70:71], -v[2:3]
	ds_write_b128 v35, v[6:9] offset:16384
	v_or_b32_e32 v6, 0x6800, v35
	global_load_dwordx4 v[2:5], v[10:11], off
	global_load_dwordx4 v[74:77], v6, s[4:5]
	v_accvgpr_write_b32 a80, v6
	v_mad_u64_u32 v[10:11], s[10:11], s8, v46, v[10:11]
	v_add_u32_e32 v11, s2, v11
	v_mad_u64_u32 v[12:13], s[10:11], s8, v12, v[10:11]
	v_add_u32_e32 v13, s3, v13
	s_waitcnt vmcnt(0)
	v_mul_f64 v[6:7], v[4:5], v[76:77]
	v_fmac_f64_e32 v[6:7], v[2:3], v[74:75]
	v_mul_f64 v[2:3], v[2:3], v[76:77]
	v_fma_f64 v[8:9], v[4:5], v[74:75], -v[2:3]
	ds_write_b128 v35, v[6:9] offset:26624
	v_or_b32_e32 v6, 0x9000, v35
	global_load_dwordx4 v[2:5], v[10:11], off
	global_load_dwordx4 v[78:81], v6, s[4:5]
	v_accvgpr_write_b32 a81, v6
	s_waitcnt vmcnt(0)
	v_mul_f64 v[6:7], v[4:5], v[80:81]
	v_fmac_f64_e32 v[6:7], v[2:3], v[78:79]
	v_mul_f64 v[2:3], v[2:3], v[80:81]
	v_fma_f64 v[8:9], v[4:5], v[78:79], -v[2:3]
	v_or_b32_e32 v2, 0x200, v43
	v_lshlrev_b32_e32 v3, 4, v2
	ds_write_b128 v35, v[6:9] offset:36864
	global_load_dwordx4 v[4:7], v[12:13], off
	global_load_dwordx4 v[14:17], v3, s[4:5]
	v_mad_u64_u32 v[12:13], s[10:11], s8, v46, v[12:13]
	v_accvgpr_write_b32 a77, v3
	v_add_u32_e32 v13, s2, v13
	v_or_b32_e32 v3, 0x4800, v35
	v_accvgpr_write_b32 a79, v3
	s_waitcnt vmcnt(0)
	v_mul_f64 v[8:9], v[6:7], v[16:17]
	v_fmac_f64_e32 v[8:9], v[4:5], v[14:15]
	v_mul_f64 v[4:5], v[4:5], v[16:17]
	v_accvgpr_write_b32 a47, v17
	v_fma_f64 v[10:11], v[6:7], v[14:15], -v[4:5]
	v_accvgpr_write_b32 a46, v16
	v_accvgpr_write_b32 a45, v15
	v_accvgpr_write_b32 a44, v14
	global_load_dwordx4 v[4:7], v[12:13], off
	global_load_dwordx4 v[14:17], v3, s[4:5]
	ds_write_b128 v35, v[8:11] offset:8192
	v_mad_u64_u32 v[12:13], s[10:11], s8, v46, v[12:13]
	v_add_u32_e32 v13, s2, v13
	v_or_b32_e32 v3, 0x7000, v35
	v_accvgpr_write_b32 a72, v3
	s_mov_b32 s11, 0xbfee6f0e
	s_waitcnt vmcnt(0)
	v_mul_f64 v[8:9], v[6:7], v[16:17]
	v_fmac_f64_e32 v[8:9], v[4:5], v[14:15]
	v_mul_f64 v[4:5], v[4:5], v[16:17]
	v_accvgpr_write_b32 a51, v17
	v_fma_f64 v[10:11], v[6:7], v[14:15], -v[4:5]
	v_accvgpr_write_b32 a50, v16
	v_accvgpr_write_b32 a49, v15
	;; [unrolled: 1-line block ×3, first 2 shown]
	global_load_dwordx4 v[4:7], v[12:13], off
	global_load_dwordx4 v[14:17], v3, s[4:5]
	ds_write_b128 v35, v[8:11] offset:18432
	v_or_b32_e32 v3, 0x9800, v35
	v_accvgpr_write_b32 a64, v3
	s_waitcnt vmcnt(0)
	v_mul_f64 v[8:9], v[6:7], v[16:17]
	v_fmac_f64_e32 v[8:9], v[4:5], v[14:15]
	v_mul_f64 v[4:5], v[4:5], v[16:17]
	v_fma_f64 v[10:11], v[6:7], v[14:15], -v[4:5]
	v_mad_u64_u32 v[4:5], s[8:9], s8, v46, v[12:13]
	v_accvgpr_write_b32 a35, v17
	v_add_u32_e32 v5, s2, v5
	v_accvgpr_write_b32 a34, v16
	v_accvgpr_write_b32 a33, v15
	v_accvgpr_write_b32 a32, v14
	global_load_dwordx4 v[4:7], v[4:5], off
	ds_write_b128 v35, v[8:11] offset:28672
	global_load_dwordx4 v[12:15], v3, s[4:5]
	v_lshlrev_b32_e32 v3, 6, v34
	v_accvgpr_write_b32 a63, v3
	s_mov_b32 s4, 0x4755a5e
	s_mov_b32 s5, 0x3fe2cf23
	;; [unrolled: 1-line block ×6, first 2 shown]
	s_waitcnt vmcnt(0)
	v_mul_f64 v[8:9], v[6:7], v[14:15]
	v_fmac_f64_e32 v[8:9], v[4:5], v[12:13]
	v_mul_f64 v[4:5], v[4:5], v[14:15]
	v_fma_f64 v[10:11], v[6:7], v[12:13], -v[4:5]
	v_accvgpr_write_b32 a27, v15
	v_accvgpr_write_b32 a26, v14
	;; [unrolled: 1-line block ×4, first 2 shown]
	ds_write_b128 v35, v[8:11] offset:38912
	s_waitcnt lgkmcnt(0)
	s_barrier
	ds_read_b128 v[4:7], v35
	ds_read_b128 v[8:11], v35 offset:10240
	ds_read_b128 v[12:15], v35 offset:20480
	;; [unrolled: 1-line block ×19, first 2 shown]
	s_waitcnt lgkmcnt(14)
	v_add_f64 v[32:33], v[4:5], -v[12:13]
	v_add_f64 v[36:37], v[6:7], -v[14:15]
	;; [unrolled: 1-line block ×4, first 2 shown]
	v_fma_f64 v[12:13], v[4:5], 2.0, -v[32:33]
	v_fma_f64 v[14:15], v[6:7], 2.0, -v[36:37]
	;; [unrolled: 1-line block ×4, first 2 shown]
	v_add_f64 v[4:5], v[12:13], -v[4:5]
	v_add_f64 v[6:7], v[14:15], -v[6:7]
	v_fma_f64 v[8:9], v[12:13], 2.0, -v[4:5]
	v_fma_f64 v[10:11], v[14:15], 2.0, -v[6:7]
	v_add_f64 v[12:13], v[32:33], -v[18:19]
	v_add_f64 v[14:15], v[36:37], v[16:17]
	s_waitcnt lgkmcnt(13)
	v_add_f64 v[28:29], v[20:21], -v[28:29]
	v_add_f64 v[30:31], v[22:23], -v[30:31]
	s_waitcnt lgkmcnt(12)
	v_add_f64 v[134:135], v[24:25], -v[82:83]
	v_add_f64 v[82:83], v[26:27], -v[84:85]
	v_fma_f64 v[16:17], v[32:33], 2.0, -v[12:13]
	v_fma_f64 v[18:19], v[36:37], 2.0, -v[14:15]
	v_fma_f64 v[32:33], v[20:21], 2.0, -v[28:29]
	v_fma_f64 v[36:37], v[22:23], 2.0, -v[30:31]
	v_fma_f64 v[20:21], v[24:25], 2.0, -v[134:135]
	v_fma_f64 v[22:23], v[26:27], 2.0, -v[82:83]
	v_add_f64 v[82:83], v[28:29], -v[82:83]
	v_add_f64 v[84:85], v[30:31], v[134:135]
	v_add_f64 v[20:21], v[32:33], -v[20:21]
	v_add_f64 v[22:23], v[36:37], -v[22:23]
	v_fma_f64 v[134:135], v[28:29], 2.0, -v[82:83]
	v_fma_f64 v[136:137], v[30:31], 2.0, -v[84:85]
	s_waitcnt lgkmcnt(9)
	v_add_f64 v[28:29], v[86:87], -v[94:95]
	v_add_f64 v[30:31], v[88:89], -v[96:97]
	s_waitcnt lgkmcnt(8)
	v_add_f64 v[96:97], v[90:91], -v[98:99]
	v_add_f64 v[94:95], v[92:93], -v[100:101]
	v_fma_f64 v[24:25], v[32:33], 2.0, -v[20:21]
	v_fma_f64 v[26:27], v[36:37], 2.0, -v[22:23]
	v_fma_f64 v[32:33], v[86:87], 2.0, -v[28:29]
	v_fma_f64 v[36:37], v[88:89], 2.0, -v[30:31]
	v_fma_f64 v[86:87], v[90:91], 2.0, -v[96:97]
	v_fma_f64 v[88:89], v[92:93], 2.0, -v[94:95]
	v_add_f64 v[94:95], v[28:29], -v[94:95]
	v_add_f64 v[96:97], v[30:31], v[96:97]
	v_add_f64 v[86:87], v[32:33], -v[86:87]
	v_add_f64 v[88:89], v[36:37], -v[88:89]
	v_fma_f64 v[98:99], v[28:29], 2.0, -v[94:95]
	v_fma_f64 v[100:101], v[30:31], 2.0, -v[96:97]
	;; [unrolled: 18-line block ×3, first 2 shown]
	s_waitcnt lgkmcnt(1)
	v_add_f64 v[28:29], v[118:119], -v[126:127]
	v_add_f64 v[30:31], v[120:121], -v[128:129]
	s_waitcnt lgkmcnt(0)
	v_add_f64 v[128:129], v[122:123], -v[130:131]
	v_add_f64 v[126:127], v[124:125], -v[132:133]
	v_fma_f64 v[106:107], v[32:33], 2.0, -v[102:103]
	v_fma_f64 v[108:109], v[36:37], 2.0, -v[104:105]
	;; [unrolled: 1-line block ×6, first 2 shown]
	v_add_f64 v[118:119], v[32:33], -v[118:119]
	v_add_f64 v[120:121], v[36:37], -v[120:121]
	v_fma_f64 v[122:123], v[32:33], 2.0, -v[118:119]
	v_fma_f64 v[124:125], v[36:37], 2.0, -v[120:121]
	v_add_f64 v[126:127], v[28:29], -v[126:127]
	v_add_f64 v[128:129], v[30:31], v[128:129]
	v_lshlrev_b32_e32 v32, 2, v0
	v_lshlrev_b32_e32 v0, 6, v0
	v_and_b32_e32 v37, 3, v43
	v_fma_f64 v[130:131], v[28:29], 2.0, -v[126:127]
	v_fma_f64 v[132:133], v[30:31], 2.0, -v[128:129]
	s_barrier
	ds_write_b128 v47, v[8:11]
	ds_write_b128 v47, v[16:19] offset:16
	ds_write_b128 v47, v[4:7] offset:32
	;; [unrolled: 1-line block ×11, first 2 shown]
	v_accvgpr_write_b32 a62, v0
	v_lshlrev_b32_e32 v0, 6, v1
	v_mad_u64_u32 v[26:27], s[2:3], v37, 48, s[6:7]
	ds_write_b128 v47, v[106:109] offset:24576
	ds_write_b128 v0, v[114:117] offset:16
	ds_write_b128 v0, v[102:105] offset:32
	ds_write_b128 v0, v[110:113] offset:48
	v_accvgpr_write_b32 a61, v0
	v_lshlrev_b32_e32 v36, 2, v2
	v_lshlrev_b32_e32 v0, 6, v2
	ds_write_b128 v47, v[122:125] offset:32768
	ds_write_b128 v0, v[130:133] offset:16
	;; [unrolled: 1-line block ×4, first 2 shown]
	s_waitcnt lgkmcnt(0)
	s_barrier
	ds_read_b128 v[98:101], v35
	ds_read_b128 v[22:25], v35 offset:10240
	ds_read_b128 v[146:149], v35 offset:20480
	;; [unrolled: 1-line block ×19, first 2 shown]
	global_load_dwordx4 v[130:133], v[26:27], off offset:32
	global_load_dwordx4 v[134:137], v[26:27], off offset:16
	global_load_dwordx4 v[138:141], v[26:27], off
	v_lshlrev_b32_e32 v30, 2, v43
	s_movk_i32 s2, 0x1f0
	v_and_or_b32 v38, v30, s2, v37
	v_lshlrev_b32_e32 v31, 2, v34
	v_lshlrev_b32_e32 v254, 4, v38
	s_movk_i32 s2, 0x3f0
	s_waitcnt lgkmcnt(0)
	s_barrier
	v_lshlrev_b32_e32 v33, 2, v1
	v_accvgpr_write_b32 a60, v0
	v_mov_b64_e32 v[0:1], s[6:7]
	s_waitcnt vmcnt(2)
	v_mul_f64 v[156:157], v[10:11], v[132:133]
	s_waitcnt vmcnt(1)
	v_mul_f64 v[28:29], v[146:147], v[136:137]
	;; [unrolled: 2-line block ×3, first 2 shown]
	v_fma_f64 v[26:27], v[22:23], v[138:139], -v[26:27]
	v_mul_f64 v[22:23], v[22:23], v[140:141]
	v_fmac_f64_e32 v[22:23], v[24:25], v[138:139]
	v_mul_f64 v[24:25], v[148:149], v[136:137]
	v_fma_f64 v[24:25], v[146:147], v[134:135], -v[24:25]
	v_mul_f64 v[146:147], v[144:145], v[132:133]
	v_fma_f64 v[146:147], v[142:143], v[130:131], -v[146:147]
	v_mul_f64 v[142:143], v[142:143], v[132:133]
	v_fmac_f64_e32 v[142:143], v[144:145], v[130:131]
	v_mul_f64 v[144:145], v[20:21], v[140:141]
	v_fma_f64 v[144:145], v[18:19], v[138:139], -v[144:145]
	v_mul_f64 v[18:19], v[18:19], v[140:141]
	v_fmac_f64_e32 v[18:19], v[20:21], v[138:139]
	v_mul_f64 v[20:21], v[16:17], v[136:137]
	v_fmac_f64_e32 v[28:29], v[148:149], v[134:135]
	v_fma_f64 v[20:21], v[14:15], v[134:135], -v[20:21]
	v_mul_f64 v[148:149], v[14:15], v[136:137]
	v_mul_f64 v[14:15], v[128:129], v[132:133]
	v_fma_f64 v[150:151], v[126:127], v[130:131], -v[14:15]
	v_mul_f64 v[126:127], v[126:127], v[132:133]
	v_mul_f64 v[14:15], v[124:125], v[140:141]
	v_fmac_f64_e32 v[126:127], v[128:129], v[130:131]
	v_fma_f64 v[128:129], v[122:123], v[138:139], -v[14:15]
	v_mul_f64 v[122:123], v[122:123], v[140:141]
	v_mul_f64 v[14:15], v[120:121], v[136:137]
	v_fmac_f64_e32 v[122:123], v[124:125], v[138:139]
	;; [unrolled: 4-line block ×5, first 2 shown]
	v_fma_f64 v[112:113], v[106:107], v[134:135], -v[14:15]
	v_mul_f64 v[14:15], v[12:13], v[132:133]
	v_fma_f64 v[154:155], v[10:11], v[130:131], -v[14:15]
	v_mul_f64 v[10:11], v[104:105], v[140:141]
	;; [unrolled: 2-line block ×3, first 2 shown]
	v_fmac_f64_e32 v[148:149], v[16:17], v[134:135]
	v_fmac_f64_e32 v[156:157], v[12:13], v[130:131]
	v_fma_f64 v[162:163], v[6:7], v[134:135], -v[10:11]
	v_mul_f64 v[164:165], v[6:7], v[136:137]
	v_mul_f64 v[6:7], v[4:5], v[132:133]
	;; [unrolled: 1-line block ×3, first 2 shown]
	v_add_f64 v[14:15], v[98:99], -v[24:25]
	v_add_f64 v[16:17], v[100:101], -v[28:29]
	;; [unrolled: 1-line block ×4, first 2 shown]
	v_fmac_f64_e32 v[164:165], v[8:9], v[134:135]
	v_fma_f64 v[166:167], v[2:3], v[130:131], -v[6:7]
	v_fmac_f64_e32 v[168:169], v[4:5], v[130:131]
	v_fma_f64 v[6:7], v[98:99], 2.0, -v[14:15]
	v_fma_f64 v[8:9], v[100:101], 2.0, -v[16:17]
	;; [unrolled: 1-line block ×4, first 2 shown]
	v_mul_f64 v[152:153], v[106:107], v[136:137]
	v_mul_f64 v[160:161], v[102:103], v[140:141]
	v_add_f64 v[2:3], v[6:7], -v[2:3]
	v_add_f64 v[4:5], v[8:9], -v[4:5]
	;; [unrolled: 1-line block ×6, first 2 shown]
	v_fmac_f64_e32 v[152:153], v[108:109], v[134:135]
	v_fmac_f64_e32 v[160:161], v[104:105], v[138:139]
	v_fma_f64 v[6:7], v[6:7], 2.0, -v[2:3]
	v_fma_f64 v[8:9], v[8:9], 2.0, -v[4:5]
	v_add_f64 v[10:11], v[14:15], -v[10:11]
	v_add_f64 v[12:13], v[16:17], v[12:13]
	v_fma_f64 v[22:23], v[94:95], 2.0, -v[98:99]
	v_fma_f64 v[24:25], v[96:97], 2.0, -v[100:101]
	;; [unrolled: 1-line block ×4, first 2 shown]
	v_add_f64 v[26:27], v[98:99], -v[26:27]
	v_add_f64 v[28:29], v[100:101], v[28:29]
	v_add_f64 v[106:107], v[90:91], -v[124:125]
	v_add_f64 v[108:109], v[92:93], -v[118:119]
	;; [unrolled: 1-line block ×4, first 2 shown]
	v_fma_f64 v[14:15], v[14:15], 2.0, -v[10:11]
	v_fma_f64 v[16:17], v[16:17], 2.0, -v[12:13]
	v_add_f64 v[18:19], v[22:23], -v[20:21]
	v_add_f64 v[20:21], v[24:25], -v[94:95]
	v_fma_f64 v[94:95], v[98:99], 2.0, -v[26:27]
	v_fma_f64 v[96:97], v[100:101], 2.0, -v[28:29]
	;; [unrolled: 1-line block ×6, first 2 shown]
	ds_write_b128 v254, v[6:9]
	ds_write_b128 v254, v[14:17] offset:64
	ds_write_b128 v254, v[2:5] offset:128
	;; [unrolled: 1-line block ×3, first 2 shown]
	v_and_or_b32 v2, v31, s2, v37
	s_movk_i32 s2, 0x5f0
	v_add_f64 v[90:91], v[98:99], -v[90:91]
	v_add_f64 v[92:93], v[100:101], -v[92:93]
	;; [unrolled: 1-line block ×6, first 2 shown]
	v_lshlrev_b32_e32 v255, 4, v2
	v_and_or_b32 v2, v32, s2, v37
	v_fma_f64 v[22:23], v[22:23], 2.0, -v[18:19]
	v_fma_f64 v[24:25], v[24:25], 2.0, -v[20:21]
	;; [unrolled: 1-line block ×4, first 2 shown]
	v_add_f64 v[102:103], v[106:107], -v[102:103]
	v_add_f64 v[104:105], v[108:109], v[104:105]
	v_fma_f64 v[112:113], v[86:87], 2.0, -v[118:119]
	v_fma_f64 v[114:115], v[88:89], 2.0, -v[120:121]
	v_fma_f64 v[86:87], v[116:117], 2.0, -v[122:123]
	v_fma_f64 v[88:89], v[110:111], 2.0, -v[124:125]
	v_lshlrev_b32_e32 v2, 4, v2
	s_movk_i32 s2, 0x7f0
	v_fma_f64 v[106:107], v[106:107], 2.0, -v[102:103]
	v_fma_f64 v[108:109], v[108:109], 2.0, -v[104:105]
	v_add_f64 v[86:87], v[112:113], -v[86:87]
	v_add_f64 v[88:89], v[114:115], -v[88:89]
	;; [unrolled: 1-line block ×6, first 2 shown]
	ds_write_b128 v255, v[22:25]
	ds_write_b128 v255, v[94:97] offset:64
	ds_write_b128 v255, v[18:21] offset:128
	;; [unrolled: 1-line block ×3, first 2 shown]
	ds_write_b128 v2, v[98:101]
	ds_write_b128 v2, v[106:109] offset:64
	ds_write_b128 v2, v[90:93] offset:128
	ds_write_b128 v2, v[102:105] offset:192
	v_accvgpr_write_b32 a58, v2
	v_and_or_b32 v2, v33, s2, v37
	v_fma_f64 v[110:111], v[112:113], 2.0, -v[86:87]
	v_fma_f64 v[112:113], v[114:115], 2.0, -v[88:89]
	v_add_f64 v[114:115], v[118:119], -v[124:125]
	v_add_f64 v[116:117], v[120:121], v[122:123]
	v_fma_f64 v[122:123], v[82:83], 2.0, -v[142:143]
	v_fma_f64 v[124:125], v[84:85], 2.0, -v[144:145]
	;; [unrolled: 1-line block ×4, first 2 shown]
	v_lshlrev_b32_e32 v2, 4, v2
	s_movk_i32 s2, 0x9f0
	v_fma_f64 v[118:119], v[118:119], 2.0, -v[114:115]
	v_fma_f64 v[120:121], v[120:121], 2.0, -v[116:117]
	v_add_f64 v[82:83], v[122:123], -v[82:83]
	v_add_f64 v[84:85], v[124:125], -v[84:85]
	ds_write_b128 v2, v[110:113]
	ds_write_b128 v2, v[118:121] offset:64
	ds_write_b128 v2, v[86:89] offset:128
	;; [unrolled: 1-line block ×3, first 2 shown]
	v_accvgpr_write_b32 a57, v2
	v_and_or_b32 v2, v36, s2, v37
	v_fma_f64 v[122:123], v[122:123], 2.0, -v[82:83]
	v_fma_f64 v[124:125], v[124:125], 2.0, -v[84:85]
	v_add_f64 v[126:127], v[142:143], -v[126:127]
	v_add_f64 v[128:129], v[144:145], v[128:129]
	v_lshlrev_b32_e32 v2, 4, v2
	v_and_b32_e32 v37, 15, v43
	v_fma_f64 v[142:143], v[142:143], 2.0, -v[126:127]
	v_fma_f64 v[144:145], v[144:145], 2.0, -v[128:129]
	ds_write_b128 v2, v[122:125]
	ds_write_b128 v2, v[142:145] offset:64
	ds_write_b128 v2, v[82:85] offset:128
	;; [unrolled: 1-line block ×3, first 2 shown]
	v_mad_u64_u32 v[126:127], s[2:3], v37, 48, s[6:7]
	v_accvgpr_write_b32 a59, v2
	s_waitcnt lgkmcnt(0)
	s_barrier
	ds_read_b128 v[2:5], v35
	ds_read_b128 v[154:157], v35 offset:10240
	ds_read_b128 v[26:29], v35 offset:20480
	;; [unrolled: 1-line block ×19, first 2 shown]
	global_load_dwordx4 v[118:121], v[126:127], off offset:224
	global_load_dwordx4 v[122:125], v[126:127], off offset:208
	s_nop 0
	global_load_dwordx4 v[126:129], v[126:127], off offset:192
	s_movk_i32 s2, 0x1c0
	v_and_or_b32 v30, v30, s2, v37
	v_lshlrev_b32_e32 v30, 4, v30
	s_movk_i32 s2, 0x3c0
	s_waitcnt lgkmcnt(0)
	s_barrier
	v_accvgpr_write_b32 a56, v30
	s_waitcnt vmcnt(2)
	v_mul_f64 v[184:185], v[6:7], v[120:121]
	s_waitcnt vmcnt(1)
	v_mul_f64 v[160:161], v[18:19], v[124:125]
	;; [unrolled: 2-line block ×3, first 2 shown]
	v_fma_f64 v[158:159], v[154:155], v[126:127], -v[158:159]
	v_mul_f64 v[154:155], v[154:155], v[128:129]
	v_fmac_f64_e32 v[154:155], v[156:157], v[126:127]
	v_mul_f64 v[156:157], v[28:29], v[124:125]
	v_fma_f64 v[156:157], v[26:27], v[122:123], -v[156:157]
	v_mul_f64 v[26:27], v[26:27], v[124:125]
	v_fmac_f64_e32 v[26:27], v[28:29], v[122:123]
	v_mul_f64 v[28:29], v[152:153], v[120:121]
	;; [unrolled: 4-line block ×7, first 2 shown]
	v_fma_f64 v[116:117], v[18:19], v[122:123], -v[116:117]
	v_mul_f64 v[18:19], v[112:113], v[120:121]
	v_fma_f64 v[162:163], v[110:111], v[118:119], -v[18:19]
	v_mul_f64 v[110:111], v[110:111], v[120:121]
	v_mul_f64 v[18:19], v[16:17], v[128:129]
	v_fmac_f64_e32 v[110:111], v[112:113], v[118:119]
	v_fma_f64 v[112:113], v[14:15], v[126:127], -v[18:19]
	v_mul_f64 v[164:165], v[14:15], v[128:129]
	v_mul_f64 v[14:15], v[108:109], v[124:125]
	v_fma_f64 v[166:167], v[106:107], v[122:123], -v[14:15]
	v_mul_f64 v[14:15], v[104:105], v[120:121]
	v_fma_f64 v[170:171], v[102:103], v[118:119], -v[14:15]
	;; [unrolled: 2-line block ×4, first 2 shown]
	v_mul_f64 v[180:181], v[10:11], v[124:125]
	v_mul_f64 v[10:11], v[8:9], v[120:121]
	v_fmac_f64_e32 v[164:165], v[16:17], v[126:127]
	v_mul_f64 v[176:177], v[98:99], v[128:129]
	v_fmac_f64_e32 v[180:181], v[12:13], v[122:123]
	v_fma_f64 v[182:183], v[6:7], v[118:119], -v[10:11]
	v_add_f64 v[14:15], v[2:3], -v[156:157]
	v_add_f64 v[16:17], v[4:5], -v[26:27]
	;; [unrolled: 1-line block ×5, first 2 shown]
	v_fmac_f64_e32 v[176:177], v[100:101], v[126:127]
	v_fmac_f64_e32 v[184:185], v[8:9], v[118:119]
	v_fma_f64 v[6:7], v[2:3], 2.0, -v[14:15]
	v_fma_f64 v[8:9], v[4:5], 2.0, -v[16:17]
	;; [unrolled: 1-line block ×4, first 2 shown]
	v_add_f64 v[100:101], v[96:97], -v[22:23]
	v_fma_f64 v[22:23], v[94:95], 2.0, -v[98:99]
	v_add_f64 v[94:95], v[146:147], -v[142:143]
	v_fmac_f64_e32 v[160:161], v[20:21], v[122:123]
	v_add_f64 v[2:3], v[6:7], -v[2:3]
	v_add_f64 v[4:5], v[8:9], -v[4:5]
	v_fma_f64 v[26:27], v[96:97], 2.0, -v[100:101]
	v_add_f64 v[28:29], v[152:153], -v[24:25]
	v_fma_f64 v[20:21], v[146:147], 2.0, -v[94:95]
	v_mul_f64 v[168:169], v[106:107], v[124:125]
	v_mul_f64 v[172:173], v[102:103], v[120:121]
	v_fma_f64 v[6:7], v[6:7], 2.0, -v[2:3]
	v_fma_f64 v[8:9], v[8:9], 2.0, -v[4:5]
	v_add_f64 v[10:11], v[14:15], -v[10:11]
	v_add_f64 v[12:13], v[16:17], v[12:13]
	v_fma_f64 v[18:19], v[152:153], 2.0, -v[28:29]
	v_add_f64 v[20:21], v[26:27], -v[20:21]
	v_fmac_f64_e32 v[168:169], v[108:109], v[122:123]
	v_fmac_f64_e32 v[172:173], v[104:105], v[118:119]
	v_fma_f64 v[14:15], v[14:15], 2.0, -v[10:11]
	v_fma_f64 v[16:17], v[16:17], 2.0, -v[12:13]
	v_add_f64 v[18:19], v[22:23], -v[18:19]
	v_fma_f64 v[24:25], v[26:27], 2.0, -v[20:21]
	v_add_f64 v[26:27], v[98:99], -v[94:95]
	v_add_f64 v[28:29], v[100:101], v[28:29]
	v_add_f64 v[106:107], v[90:91], -v[116:117]
	v_add_f64 v[108:109], v[92:93], -v[160:161]
	;; [unrolled: 1-line block ×4, first 2 shown]
	ds_write_b128 v30, v[6:9]
	ds_write_b128 v30, v[14:17] offset:256
	ds_write_b128 v30, v[2:5] offset:512
	ds_write_b128 v30, v[10:13] offset:768
	v_and_or_b32 v2, v31, s2, v37
	v_fma_f64 v[22:23], v[22:23], 2.0, -v[18:19]
	v_fma_f64 v[94:95], v[98:99], 2.0, -v[26:27]
	;; [unrolled: 1-line block ×7, first 2 shown]
	v_lshlrev_b32_e32 v2, 4, v2
	s_movk_i32 s2, 0x5c0
	v_add_f64 v[90:91], v[98:99], -v[90:91]
	v_add_f64 v[92:93], v[100:101], -v[92:93]
	;; [unrolled: 1-line block ×6, first 2 shown]
	ds_write_b128 v2, v[22:25]
	ds_write_b128 v2, v[94:97] offset:256
	ds_write_b128 v2, v[18:21] offset:512
	;; [unrolled: 1-line block ×3, first 2 shown]
	v_accvgpr_write_b32 a53, v2
	v_and_or_b32 v2, v32, s2, v37
	v_fma_f64 v[98:99], v[98:99], 2.0, -v[90:91]
	v_fma_f64 v[100:101], v[100:101], 2.0, -v[92:93]
	v_add_f64 v[102:103], v[106:107], -v[102:103]
	v_add_f64 v[104:105], v[108:109], v[104:105]
	v_fma_f64 v[110:111], v[86:87], 2.0, -v[142:143]
	v_fma_f64 v[114:115], v[88:89], 2.0, -v[144:145]
	;; [unrolled: 1-line block ×4, first 2 shown]
	v_lshlrev_b32_e32 v2, 4, v2
	s_movk_i32 s2, 0x7c0
	v_fma_f64 v[106:107], v[106:107], 2.0, -v[102:103]
	v_fma_f64 v[108:109], v[108:109], 2.0, -v[104:105]
	v_add_f64 v[86:87], v[110:111], -v[86:87]
	v_add_f64 v[88:89], v[114:115], -v[88:89]
	;; [unrolled: 1-line block ×6, first 2 shown]
	ds_write_b128 v2, v[98:101]
	ds_write_b128 v2, v[106:109] offset:256
	ds_write_b128 v2, v[90:93] offset:512
	;; [unrolled: 1-line block ×3, first 2 shown]
	v_accvgpr_write_b32 a52, v2
	v_and_or_b32 v2, v33, s2, v37
	v_fma_f64 v[110:111], v[110:111], 2.0, -v[86:87]
	v_fma_f64 v[112:113], v[114:115], 2.0, -v[88:89]
	v_add_f64 v[114:115], v[142:143], -v[146:147]
	v_add_f64 v[116:117], v[144:145], v[116:117]
	v_fma_f64 v[146:147], v[82:83], 2.0, -v[154:155]
	v_fma_f64 v[148:149], v[84:85], 2.0, -v[156:157]
	;; [unrolled: 1-line block ×4, first 2 shown]
	v_lshlrev_b32_e32 v2, 4, v2
	s_movk_i32 s2, 0x9c0
	v_fma_f64 v[142:143], v[142:143], 2.0, -v[114:115]
	v_fma_f64 v[144:145], v[144:145], 2.0, -v[116:117]
	v_add_f64 v[82:83], v[146:147], -v[82:83]
	v_add_f64 v[84:85], v[148:149], -v[84:85]
	;; [unrolled: 1-line block ×3, first 2 shown]
	v_add_f64 v[152:153], v[156:157], v[152:153]
	ds_write_b128 v2, v[110:113]
	ds_write_b128 v2, v[142:145] offset:256
	ds_write_b128 v2, v[86:89] offset:512
	;; [unrolled: 1-line block ×3, first 2 shown]
	v_accvgpr_write_b32 a54, v2
	v_and_or_b32 v2, v36, s2, v37
	v_and_b32_e32 v36, 63, v43
	s_movk_i32 s2, 0x90
	v_fma_f64 v[146:147], v[146:147], 2.0, -v[82:83]
	v_fma_f64 v[148:149], v[148:149], 2.0, -v[84:85]
	;; [unrolled: 1-line block ×4, first 2 shown]
	v_lshlrev_b32_e32 v2, 4, v2
	v_mad_u64_u32 v[0:1], s[2:3], v36, s2, v[0:1]
	ds_write_b128 v2, v[146:149]
	ds_write_b128 v2, v[154:157] offset:256
	ds_write_b128 v2, v[82:85] offset:512
	ds_write_b128 v2, v[150:153] offset:768
	v_accvgpr_write_b32 a55, v2
	s_waitcnt lgkmcnt(0)
	s_barrier
	ds_read_b128 v[154:157], v35
	ds_read_b128 v[26:29], v35 offset:4096
	ds_read_b128 v[22:25], v35 offset:8192
	;; [unrolled: 1-line block ×19, first 2 shown]
	global_load_dwordx4 v[90:93], v[0:1], off offset:1008
	global_load_dwordx4 v[98:101], v[0:1], off offset:992
	;; [unrolled: 1-line block ×8, first 2 shown]
	s_mov_b32 s2, 0x134454ff
	s_mov_b32 s3, 0x3fee6f0e
	;; [unrolled: 1-line block ×3, first 2 shown]
	s_waitcnt vmcnt(7) lgkmcnt(14)
	v_mul_f64 v[210:211], v[14:15], v[92:93]
	s_waitcnt vmcnt(6)
	v_mul_f64 v[196:197], v[18:19], v[100:101]
	s_waitcnt vmcnt(5)
	;; [unrolled: 2-line block ×3, first 2 shown]
	v_mul_f64 v[30:31], v[28:29], v[108:109]
	v_fma_f64 v[190:191], v[26:27], v[106:107], -v[30:31]
	v_mul_f64 v[192:193], v[26:27], v[108:109]
	v_mul_f64 v[26:27], v[24:25], v[104:105]
	v_fma_f64 v[212:213], v[22:23], v[102:103], -v[26:27]
	v_mul_f64 v[22:23], v[20:21], v[100:101]
	v_fma_f64 v[198:199], v[18:19], v[98:99], -v[22:23]
	;; [unrolled: 2-line block ×3, first 2 shown]
	s_waitcnt vmcnt(0)
	v_mul_f64 v[14:15], v[116:117], v[112:113]
	v_mul_f64 v[200:201], v[114:115], v[112:113]
	v_fma_f64 v[204:205], v[114:115], v[110:111], -v[14:15]
	v_fmac_f64_e32 v[200:201], v[116:117], v[110:111]
	global_load_dwordx4 v[114:117], v[0:1], off offset:1088
	s_waitcnt lgkmcnt(13)
	v_mul_f64 v[14:15], v[12:13], v[96:97]
	v_fma_f64 v[222:223], v[10:11], v[94:95], -v[14:15]
	v_mul_f64 v[216:217], v[10:11], v[96:97]
	s_waitcnt lgkmcnt(12)
	v_mul_f64 v[10:11], v[8:9], v[88:89]
	v_add_f64 v[30:31], v[154:155], v[212:213]
	v_fma_f64 v[206:207], v[6:7], v[86:87], -v[10:11]
	v_mul_f64 v[202:203], v[6:7], v[88:89]
	s_waitcnt lgkmcnt(11)
	v_mul_f64 v[6:7], v[4:5], v[84:85]
	v_add_f64 v[30:31], v[30:31], v[214:215]
	v_fma_f64 v[224:225], v[2:3], v[82:83], -v[6:7]
	v_mul_f64 v[218:219], v[2:3], v[84:85]
	s_waitcnt lgkmcnt(5)
	v_mul_f64 v[6:7], v[172:173], v[92:93]
	s_waitcnt lgkmcnt(1)
	v_mul_f64 v[10:11], v[152:153], v[84:85]
	v_add_f64 v[30:31], v[30:31], v[222:223]
	v_fmac_f64_e32 v[208:209], v[24:25], v[102:103]
	v_fmac_f64_e32 v[218:219], v[4:5], v[82:83]
	v_mul_f64 v[4:5], v[180:181], v[104:105]
	v_mul_f64 v[22:23], v[170:171], v[92:93]
	v_fma_f64 v[194:195], v[150:151], v[82:83], -v[10:11]
	v_fmac_f64_e32 v[192:193], v[28:29], v[106:107]
	v_fmac_f64_e32 v[210:211], v[16:17], v[90:91]
	;; [unrolled: 1-line block ×3, first 2 shown]
	v_fma_f64 v[28:29], v[178:179], v[102:103], -v[4:5]
	v_mul_f64 v[4:5], v[176:177], v[100:101]
	v_fmac_f64_e32 v[22:23], v[172:173], v[90:91]
	v_fma_f64 v[12:13], v[174:175], v[98:99], -v[4:5]
	v_mul_f64 v[4:5], v[174:175], v[100:101]
	v_add_f64 v[32:33], v[210:211], -v[216:217]
	v_fmac_f64_e32 v[196:197], v[20:21], v[98:99]
	v_mul_f64 v[20:21], v[178:179], v[104:105]
	v_fmac_f64_e32 v[20:21], v[180:181], v[102:103]
	v_fmac_f64_e32 v[4:5], v[176:177], v[98:99]
	v_mul_f64 v[2:3], v[182:183], v[108:109]
	v_fmac_f64_e32 v[2:3], v[184:185], v[106:107]
	v_mul_f64 v[24:25], v[162:163], v[96:97]
	v_fmac_f64_e32 v[202:203], v[8:9], v[86:87]
	v_mul_f64 v[8:9], v[164:165], v[96:97]
	v_fmac_f64_e32 v[24:25], v[164:165], v[94:95]
	v_mul_f64 v[26:27], v[150:151], v[84:85]
	v_fmac_f64_e32 v[26:27], v[152:153], v[82:83]
	s_waitcnt lgkmcnt(0)
	s_barrier
	s_waitcnt vmcnt(0)
	v_mul_f64 v[0:1], v[188:189], v[116:117]
	v_fma_f64 v[228:229], v[186:187], v[114:115], -v[0:1]
	v_mul_f64 v[220:221], v[186:187], v[116:117]
	v_fma_f64 v[186:187], v[170:171], v[90:91], -v[6:7]
	v_mul_f64 v[10:11], v[148:149], v[116:117]
	v_add_f64 v[170:171], v[30:31], v[224:225]
	v_add_f64 v[30:31], v[214:215], v[222:223]
	v_fma_f64 v[18:19], v[146:147], v[114:115], -v[10:11]
	v_mul_f64 v[10:11], v[146:147], v[116:117]
	v_fma_f64 v[172:173], -0.5, v[30:31], v[154:155]
	v_add_f64 v[30:31], v[208:209], -v[218:219]
	v_fmac_f64_e32 v[10:11], v[148:149], v[114:115]
	v_fma_f64 v[174:175], s[2:3], v[30:31], v[172:173]
	v_add_f64 v[146:147], v[212:213], -v[214:215]
	v_add_f64 v[148:149], v[224:225], -v[222:223]
	v_fmac_f64_e32 v[172:173], s[10:11], v[30:31]
	v_fmac_f64_e32 v[174:175], s[4:5], v[32:33]
	v_add_f64 v[146:147], v[146:147], v[148:149]
	v_fmac_f64_e32 v[172:173], s[12:13], v[32:33]
	v_fmac_f64_e32 v[174:175], s[8:9], v[146:147]
	v_fmac_f64_e32 v[172:173], s[8:9], v[146:147]
	v_add_f64 v[146:147], v[212:213], v[224:225]
	v_fmac_f64_e32 v[154:155], -0.5, v[146:147]
	v_fma_f64 v[180:181], s[10:11], v[32:33], v[154:155]
	v_fmac_f64_e32 v[154:155], s[2:3], v[32:33]
	v_fmac_f64_e32 v[180:181], s[4:5], v[30:31]
	;; [unrolled: 1-line block ×3, first 2 shown]
	v_add_f64 v[30:31], v[156:157], v[208:209]
	v_add_f64 v[30:31], v[30:31], v[210:211]
	;; [unrolled: 1-line block ×3, first 2 shown]
	v_add_f64 v[146:147], v[214:215], -v[212:213]
	v_add_f64 v[148:149], v[222:223], -v[224:225]
	v_add_f64 v[176:177], v[30:31], v[218:219]
	v_add_f64 v[30:31], v[210:211], v[216:217]
	;; [unrolled: 1-line block ×3, first 2 shown]
	v_fma_f64 v[226:227], -0.5, v[30:31], v[156:157]
	v_add_f64 v[30:31], v[212:213], -v[224:225]
	v_mul_f64 v[0:1], v[184:185], v[108:109]
	v_fmac_f64_e32 v[180:181], s[8:9], v[146:147]
	v_fmac_f64_e32 v[154:155], s[8:9], v[146:147]
	v_fma_f64 v[184:185], s[10:11], v[30:31], v[226:227]
	v_add_f64 v[32:33], v[214:215], -v[222:223]
	v_add_f64 v[146:147], v[208:209], -v[210:211]
	;; [unrolled: 1-line block ×3, first 2 shown]
	v_fmac_f64_e32 v[226:227], s[2:3], v[30:31]
	v_fmac_f64_e32 v[184:185], s[12:13], v[32:33]
	v_add_f64 v[146:147], v[146:147], v[148:149]
	v_fmac_f64_e32 v[226:227], s[4:5], v[32:33]
	v_fmac_f64_e32 v[184:185], s[8:9], v[146:147]
	;; [unrolled: 1-line block ×3, first 2 shown]
	v_add_f64 v[146:147], v[208:209], v[218:219]
	v_fmac_f64_e32 v[156:157], -0.5, v[146:147]
	v_fma_f64 v[212:213], s[2:3], v[32:33], v[156:157]
	v_fmac_f64_e32 v[156:157], s[10:11], v[32:33]
	v_fmac_f64_e32 v[212:213], s[12:13], v[30:31]
	;; [unrolled: 1-line block ×3, first 2 shown]
	v_add_f64 v[30:31], v[190:191], v[198:199]
	v_add_f64 v[30:31], v[30:31], v[204:205]
	;; [unrolled: 1-line block ×3, first 2 shown]
	v_fmac_f64_e32 v[220:221], v[188:189], v[114:115]
	v_add_f64 v[146:147], v[210:211], -v[208:209]
	v_add_f64 v[148:149], v[216:217], -v[218:219]
	v_add_f64 v[178:179], v[30:31], v[228:229]
	v_add_f64 v[30:31], v[204:205], v[206:207]
	;; [unrolled: 1-line block ×3, first 2 shown]
	v_fma_f64 v[164:165], -0.5, v[30:31], v[190:191]
	v_add_f64 v[30:31], v[196:197], -v[220:221]
	v_fmac_f64_e32 v[212:213], s[8:9], v[146:147]
	v_fmac_f64_e32 v[156:157], s[8:9], v[146:147]
	v_fma_f64 v[32:33], s[2:3], v[30:31], v[164:165]
	v_add_f64 v[146:147], v[200:201], -v[202:203]
	v_add_f64 v[148:149], v[198:199], -v[204:205]
	;; [unrolled: 1-line block ×3, first 2 shown]
	v_fmac_f64_e32 v[164:165], s[10:11], v[30:31]
	v_fmac_f64_e32 v[32:33], s[4:5], v[146:147]
	v_add_f64 v[148:149], v[148:149], v[150:151]
	v_fmac_f64_e32 v[164:165], s[12:13], v[146:147]
	v_fmac_f64_e32 v[32:33], s[8:9], v[148:149]
	;; [unrolled: 1-line block ×3, first 2 shown]
	v_add_f64 v[148:149], v[198:199], v[228:229]
	v_fmac_f64_e32 v[190:191], -0.5, v[148:149]
	v_fma_f64 v[148:149], s[10:11], v[146:147], v[190:191]
	v_fmac_f64_e32 v[190:191], s[2:3], v[146:147]
	v_fmac_f64_e32 v[148:149], s[4:5], v[30:31]
	;; [unrolled: 1-line block ×3, first 2 shown]
	v_add_f64 v[30:31], v[192:193], v[196:197]
	v_add_f64 v[30:31], v[30:31], v[200:201]
	;; [unrolled: 1-line block ×3, first 2 shown]
	v_fma_f64 v[188:189], v[162:163], v[94:95], -v[8:9]
	v_mul_f64 v[8:9], v[160:161], v[88:89]
	v_add_f64 v[150:151], v[204:205], -v[198:199]
	v_add_f64 v[152:153], v[206:207], -v[228:229]
	v_add_f64 v[208:209], v[30:31], v[220:221]
	v_add_f64 v[30:31], v[200:201], v[202:203]
	v_fma_f64 v[16:17], v[158:159], v[86:87], -v[8:9]
	v_mul_f64 v[8:9], v[158:159], v[88:89]
	v_add_f64 v[150:151], v[150:151], v[152:153]
	v_fma_f64 v[30:31], -0.5, v[30:31], v[192:193]
	v_add_f64 v[146:147], v[198:199], -v[228:229]
	v_fmac_f64_e32 v[8:9], v[160:161], v[86:87]
	v_fmac_f64_e32 v[148:149], s[8:9], v[150:151]
	;; [unrolled: 1-line block ×3, first 2 shown]
	v_fma_f64 v[152:153], s[10:11], v[146:147], v[30:31]
	v_add_f64 v[150:151], v[204:205], -v[206:207]
	v_add_f64 v[158:159], v[196:197], -v[200:201]
	;; [unrolled: 1-line block ×3, first 2 shown]
	v_fmac_f64_e32 v[30:31], s[2:3], v[146:147]
	v_fmac_f64_e32 v[152:153], s[12:13], v[150:151]
	v_add_f64 v[158:159], v[158:159], v[160:161]
	v_fmac_f64_e32 v[30:31], s[4:5], v[150:151]
	v_mul_f64 v[6:7], v[168:169], v[112:113]
	v_fmac_f64_e32 v[152:153], s[8:9], v[158:159]
	v_fmac_f64_e32 v[30:31], s[8:9], v[158:159]
	v_add_f64 v[158:159], v[196:197], v[220:221]
	v_fma_f64 v[14:15], v[166:167], v[110:111], -v[6:7]
	v_mul_f64 v[6:7], v[166:167], v[112:113]
	v_fmac_f64_e32 v[192:193], -0.5, v[158:159]
	v_fmac_f64_e32 v[6:7], v[168:169], v[110:111]
	v_fma_f64 v[168:169], s[2:3], v[150:151], v[192:193]
	v_add_f64 v[158:159], v[200:201], -v[196:197]
	v_add_f64 v[160:161], v[202:203], -v[220:221]
	v_fmac_f64_e32 v[192:193], s[10:11], v[150:151]
	v_fmac_f64_e32 v[168:169], s[12:13], v[146:147]
	v_add_f64 v[158:159], v[158:159], v[160:161]
	v_fmac_f64_e32 v[192:193], s[4:5], v[146:147]
	v_fma_f64 v[0:1], v[182:183], v[106:107], -v[0:1]
	v_fmac_f64_e32 v[168:169], s[8:9], v[158:159]
	v_fmac_f64_e32 v[192:193], s[8:9], v[158:159]
	v_mul_f64 v[182:183], v[152:153], s[4:5]
	v_mul_f64 v[198:199], v[190:191], s[18:19]
	;; [unrolled: 1-line block ×3, first 2 shown]
	v_fmac_f64_e32 v[182:183], s[16:17], v[32:33]
	v_mul_f64 v[196:197], v[168:169], s[2:3]
	v_fmac_f64_e32 v[198:199], s[2:3], v[192:193]
	v_fmac_f64_e32 v[200:201], s[4:5], v[30:31]
	v_mul_f64 v[32:33], v[32:33], s[12:13]
	v_mul_f64 v[192:193], v[192:193], s[18:19]
	;; [unrolled: 1-line block ×3, first 2 shown]
	v_fmac_f64_e32 v[196:197], s[8:9], v[148:149]
	v_fmac_f64_e32 v[32:33], s[16:17], v[152:153]
	v_mul_f64 v[202:203], v[148:149], s[10:11]
	v_fmac_f64_e32 v[192:193], s[10:11], v[190:191]
	v_fmac_f64_e32 v[30:31], s[12:13], v[164:165]
	v_add_f64 v[158:159], v[170:171], v[178:179]
	v_add_f64 v[146:147], v[180:181], v[196:197]
	;; [unrolled: 1-line block ×4, first 2 shown]
	v_fmac_f64_e32 v[202:203], s[8:9], v[168:169]
	v_add_f64 v[168:169], v[156:157], v[192:193]
	v_add_f64 v[164:165], v[226:227], v[30:31]
	v_add_f64 v[178:179], v[170:171], -v[178:179]
	v_add_f64 v[170:171], v[180:181], -v[196:197]
	;; [unrolled: 1-line block ×6, first 2 shown]
	v_add_f64 v[30:31], v[142:143], v[28:29]
	v_add_f64 v[30:31], v[30:31], v[186:187]
	;; [unrolled: 1-line block ×5, first 2 shown]
	v_fma_f64 v[208:209], -0.5, v[30:31], v[142:143]
	v_add_f64 v[30:31], v[20:21], -v[26:27]
	v_fma_f64 v[210:211], s[2:3], v[30:31], v[208:209]
	v_add_f64 v[32:33], v[22:23], -v[24:25]
	v_add_f64 v[190:191], v[28:29], -v[186:187]
	v_add_f64 v[192:193], v[194:195], -v[188:189]
	v_fmac_f64_e32 v[208:209], s[10:11], v[30:31]
	v_fmac_f64_e32 v[210:211], s[4:5], v[32:33]
	v_add_f64 v[190:191], v[190:191], v[192:193]
	v_fmac_f64_e32 v[208:209], s[12:13], v[32:33]
	v_fmac_f64_e32 v[210:211], s[8:9], v[190:191]
	;; [unrolled: 1-line block ×3, first 2 shown]
	v_add_f64 v[190:191], v[28:29], v[194:195]
	v_fmac_f64_e32 v[142:143], -0.5, v[190:191]
	v_fma_f64 v[216:217], s[10:11], v[32:33], v[142:143]
	v_fmac_f64_e32 v[142:143], s[2:3], v[32:33]
	v_fmac_f64_e32 v[216:217], s[4:5], v[30:31]
	;; [unrolled: 1-line block ×3, first 2 shown]
	v_add_f64 v[30:31], v[144:145], v[20:21]
	v_add_f64 v[30:31], v[30:31], v[22:23]
	;; [unrolled: 1-line block ×7, first 2 shown]
	v_add_f64 v[174:175], v[174:175], -v[182:183]
	v_add_f64 v[182:183], v[154:155], -v[198:199]
	;; [unrolled: 1-line block ×4, first 2 shown]
	v_add_f64 v[212:213], v[30:31], v[26:27]
	v_add_f64 v[30:31], v[22:23], v[24:25]
	v_fma_f64 v[222:223], -0.5, v[30:31], v[144:145]
	v_add_f64 v[30:31], v[28:29], -v[194:195]
	v_add_f64 v[190:191], v[186:187], -v[28:29]
	;; [unrolled: 1-line block ×3, first 2 shown]
	v_fma_f64 v[28:29], s[10:11], v[30:31], v[222:223]
	v_add_f64 v[32:33], v[186:187], -v[188:189]
	v_add_f64 v[186:187], v[20:21], -v[22:23]
	;; [unrolled: 1-line block ×3, first 2 shown]
	v_fmac_f64_e32 v[222:223], s[2:3], v[30:31]
	v_fmac_f64_e32 v[28:29], s[12:13], v[32:33]
	v_add_f64 v[186:187], v[186:187], v[188:189]
	v_fmac_f64_e32 v[222:223], s[4:5], v[32:33]
	v_fmac_f64_e32 v[28:29], s[8:9], v[186:187]
	;; [unrolled: 1-line block ×3, first 2 shown]
	v_add_f64 v[186:187], v[20:21], v[26:27]
	v_add_f64 v[20:21], v[22:23], -v[20:21]
	v_add_f64 v[22:23], v[24:25], -v[26:27]
	v_fmac_f64_e32 v[144:145], -0.5, v[186:187]
	v_add_f64 v[20:21], v[20:21], v[22:23]
	v_add_f64 v[22:23], v[14:15], v[16:17]
	v_fma_f64 v[220:221], s[2:3], v[32:33], v[144:145]
	v_fmac_f64_e32 v[144:145], s[10:11], v[32:33]
	v_fma_f64 v[22:23], -0.5, v[22:23], v[0:1]
	v_add_f64 v[24:25], v[4:5], -v[10:11]
	v_fmac_f64_e32 v[220:221], s[12:13], v[30:31]
	v_fmac_f64_e32 v[144:145], s[4:5], v[30:31]
	v_fma_f64 v[26:27], s[2:3], v[24:25], v[22:23]
	v_add_f64 v[30:31], v[6:7], -v[8:9]
	v_add_f64 v[32:33], v[12:13], -v[14:15]
	;; [unrolled: 1-line block ×3, first 2 shown]
	v_fmac_f64_e32 v[22:23], s[10:11], v[24:25]
	v_fmac_f64_e32 v[26:27], s[4:5], v[30:31]
	v_add_f64 v[32:33], v[32:33], v[186:187]
	v_fmac_f64_e32 v[22:23], s[12:13], v[30:31]
	v_fmac_f64_e32 v[26:27], s[8:9], v[32:33]
	;; [unrolled: 1-line block ×3, first 2 shown]
	v_add_f64 v[32:33], v[12:13], v[18:19]
	v_fmac_f64_e32 v[220:221], s[8:9], v[20:21]
	v_fmac_f64_e32 v[144:145], s[8:9], v[20:21]
	v_add_f64 v[20:21], v[0:1], v[12:13]
	v_fmac_f64_e32 v[0:1], -0.5, v[32:33]
	v_add_f64 v[20:21], v[20:21], v[14:15]
	v_fma_f64 v[32:33], s[10:11], v[30:31], v[0:1]
	v_add_f64 v[186:187], v[14:15], -v[12:13]
	v_add_f64 v[188:189], v[16:17], -v[18:19]
	v_fmac_f64_e32 v[0:1], s[2:3], v[30:31]
	v_add_f64 v[30:31], v[6:7], v[8:9]
	v_add_f64 v[20:21], v[20:21], v[16:17]
	v_fmac_f64_e32 v[32:33], s[4:5], v[24:25]
	v_add_f64 v[186:187], v[186:187], v[188:189]
	v_fmac_f64_e32 v[0:1], s[12:13], v[24:25]
	v_fma_f64 v[30:31], -0.5, v[30:31], v[2:3]
	v_add_f64 v[12:13], v[12:13], -v[18:19]
	v_add_f64 v[20:21], v[20:21], v[18:19]
	v_fmac_f64_e32 v[32:33], s[8:9], v[186:187]
	v_fmac_f64_e32 v[0:1], s[8:9], v[186:187]
	v_fma_f64 v[18:19], s[10:11], v[12:13], v[30:31]
	v_add_f64 v[14:15], v[14:15], -v[16:17]
	v_add_f64 v[16:17], v[4:5], -v[6:7]
	;; [unrolled: 1-line block ×3, first 2 shown]
	v_fmac_f64_e32 v[30:31], s[2:3], v[12:13]
	v_fmac_f64_e32 v[18:19], s[12:13], v[14:15]
	v_add_f64 v[16:17], v[16:17], v[186:187]
	v_fmac_f64_e32 v[30:31], s[4:5], v[14:15]
	v_fmac_f64_e32 v[18:19], s[8:9], v[16:17]
	;; [unrolled: 1-line block ×3, first 2 shown]
	v_add_f64 v[16:17], v[4:5], v[10:11]
	v_add_f64 v[24:25], v[2:3], v[4:5]
	v_fmac_f64_e32 v[2:3], -0.5, v[16:17]
	v_add_f64 v[24:25], v[24:25], v[6:7]
	v_fma_f64 v[16:17], s[2:3], v[14:15], v[2:3]
	v_add_f64 v[4:5], v[6:7], -v[4:5]
	v_add_f64 v[6:7], v[8:9], -v[10:11]
	v_fmac_f64_e32 v[2:3], s[10:11], v[14:15]
	v_add_f64 v[4:5], v[4:5], v[6:7]
	v_fmac_f64_e32 v[2:3], s[4:5], v[12:13]
	v_add_f64 v[24:25], v[24:25], v[8:9]
	v_fmac_f64_e32 v[2:3], s[8:9], v[4:5]
	v_mul_f64 v[8:9], v[0:1], s[18:19]
	v_fmac_f64_e32 v[16:17], s[12:13], v[12:13]
	v_fmac_f64_e32 v[8:9], s[2:3], v[2:3]
	v_mul_f64 v[2:3], v[2:3], s[18:19]
	v_add_f64 v[190:191], v[190:191], v[192:193]
	v_add_f64 v[24:25], v[24:25], v[10:11]
	v_fmac_f64_e32 v[16:17], s[8:9], v[4:5]
	v_mul_f64 v[10:11], v[22:23], s[20:21]
	v_mul_f64 v[14:15], v[32:33], s[10:11]
	v_fmac_f64_e32 v[2:3], s[10:11], v[0:1]
	v_mul_f64 v[0:1], v[30:31], s[20:21]
	v_fmac_f64_e32 v[142:143], s[8:9], v[190:191]
	v_fmac_f64_e32 v[10:11], s[4:5], v[30:31]
	;; [unrolled: 1-line block ×4, first 2 shown]
	v_add_f64 v[202:203], v[142:143], v[8:9]
	v_add_f64 v[198:199], v[208:209], v[10:11]
	;; [unrolled: 1-line block ×5, first 2 shown]
	v_add_f64 v[218:219], v[142:143], -v[8:9]
	v_add_f64 v[142:143], v[208:209], -v[10:11]
	;; [unrolled: 1-line block ×5, first 2 shown]
	v_lshrrev_b32_e32 v0, 6, v43
	v_mul_u32_u24_e32 v0, 0x280, v0
	v_or_b32_e32 v0, v0, v36
	v_mul_f64 v[4:5], v[18:19], s[4:5]
	v_lshlrev_b32_e32 v42, 4, v0
	v_lshrrev_b32_e32 v0, 6, v34
	v_fmac_f64_e32 v[4:5], s[16:17], v[26:27]
	v_mul_f64 v[12:13], v[26:27], s[12:13]
	v_mul_u32_u24_e32 v0, 0x280, v0
	v_mad_u64_u32 v[26:27], s[6:7], v43, 48, s[6:7]
	v_mul_f64 v[6:7], v[16:17], s[2:3]
	v_or_b32_e32 v0, v0, v36
	s_mov_b64 s[6:7], 0x27c0
	v_fmac_f64_e32 v[216:217], s[8:9], v[190:191]
	v_fmac_f64_e32 v[6:7], s[8:9], v[32:33]
	;; [unrolled: 1-line block ×3, first 2 shown]
	v_lshlrev_b32_e32 v34, 4, v0
	v_lshl_add_u64 v[0:1], v[26:27], 0, s[6:7]
	s_movk_i32 s6, 0x2000
	v_add_f64 v[194:195], v[206:207], v[20:21]
	v_add_f64 v[186:187], v[216:217], v[6:7]
	;; [unrolled: 1-line block ×4, first 2 shown]
	v_add_f64 v[214:215], v[206:207], -v[20:21]
	v_add_f64 v[206:207], v[216:217], -v[6:7]
	;; [unrolled: 1-line block ×4, first 2 shown]
	v_add_co_u32_e32 v28, vcc, s6, v26
	v_add_f64 v[190:191], v[210:211], v[4:5]
	v_add_f64 v[210:211], v[210:211], -v[4:5]
	v_addc_co_u32_e32 v29, vcc, 0, v27, vcc
	ds_write_b128 v42, v[158:161]
	ds_write_b128 v42, v[150:153] offset:1024
	ds_write_b128 v42, v[146:149] offset:2048
	;; [unrolled: 1-line block ×9, first 2 shown]
	ds_write_b128 v34, v[194:197]
	ds_write_b128 v34, v[190:193] offset:1024
	ds_write_b128 v34, v[186:189] offset:2048
	;; [unrolled: 1-line block ×9, first 2 shown]
	s_waitcnt lgkmcnt(0)
	s_barrier
	ds_read_b128 v[218:221], v35
	ds_read_b128 v[22:25], v35 offset:10240
	ds_read_b128 v[18:21], v35 offset:20480
	;; [unrolled: 1-line block ×19, first 2 shown]
	global_load_dwordx4 v[146:149], v[28:29], off offset:1984
	global_load_dwordx4 v[142:145], v[0:1], off offset:32
	;; [unrolled: 1-line block ×3, first 2 shown]
	v_add_co_u32_e32 v28, vcc, s24, v26
	s_mov_b64 s[6:7], 0x3fc0
	s_nop 0
	v_addc_co_u32_e32 v29, vcc, 0, v27, vcc
	s_waitcnt vmcnt(2) lgkmcnt(14)
	v_mul_f64 v[0:1], v[24:25], v[148:149]
	v_fma_f64 v[36:37], v[22:23], v[146:147], -v[0:1]
	v_mul_f64 v[22:23], v[22:23], v[148:149]
	v_fmac_f64_e32 v[22:23], v[24:25], v[146:147]
	s_waitcnt vmcnt(0)
	v_mul_f64 v[24:25], v[20:21], v[152:153]
	v_fma_f64 v[40:41], v[18:19], v[150:151], -v[24:25]
	v_mul_f64 v[18:19], v[18:19], v[152:153]
	v_fmac_f64_e32 v[18:19], v[20:21], v[150:151]
	v_mul_f64 v[20:21], v[16:17], v[144:145]
	v_fma_f64 v[38:39], v[14:15], v[142:143], -v[20:21]
	v_mul_f64 v[14:15], v[14:15], v[144:145]
	v_fmac_f64_e32 v[14:15], v[16:17], v[142:143]
	v_lshl_add_u64 v[16:17], v[26:27], 0, s[6:7]
	global_load_dwordx4 v[158:161], v[28:29], off offset:4032
	global_load_dwordx4 v[154:157], v[16:17], off offset:32
	;; [unrolled: 1-line block ×3, first 2 shown]
	s_mov_b64 s[6:7], 0x57c0
	v_add_f64 v[18:19], v[220:221], -v[18:19]
	v_add_f64 v[38:39], v[36:37], -v[38:39]
	;; [unrolled: 1-line block ×3, first 2 shown]
	v_fma_f64 v[36:37], v[36:37], 2.0, -v[38:39]
	v_fma_f64 v[22:23], v[22:23], 2.0, -v[14:15]
	s_waitcnt vmcnt(2)
	v_mul_f64 v[252:253], v[10:11], v[160:161]
	v_mul_f64 v[16:17], v[12:13], v[160:161]
	v_fmac_f64_e32 v[252:253], v[12:13], v[158:159]
	s_waitcnt vmcnt(0) lgkmcnt(13)
	v_mul_f64 v[12:13], v[8:9], v[164:165]
	s_waitcnt lgkmcnt(12)
	v_mul_f64 v[240:241], v[2:3], v[156:157]
	v_fma_f64 v[236:237], v[6:7], v[162:163], -v[12:13]
	v_mul_f64 v[238:239], v[6:7], v[164:165]
	v_mul_f64 v[6:7], v[4:5], v[156:157]
	v_fmac_f64_e32 v[240:241], v[4:5], v[154:155]
	v_add_co_u32_e32 v4, vcc, s23, v26
	v_fma_f64 v[24:25], v[2:3], v[154:155], -v[6:7]
	s_nop 0
	v_addc_co_u32_e32 v5, vcc, 0, v27, vcc
	v_lshl_add_u64 v[2:3], v[26:27], 0, s[6:7]
	global_load_dwordx4 v[174:177], v[4:5], off offset:1984
	global_load_dwordx4 v[166:169], v[2:3], off offset:32
	global_load_dwordx4 v[170:173], v[2:3], off offset:16
	v_add_co_u32_e32 v4, vcc, s25, v26
	s_mov_b64 s[6:7], 0x6fc0
	s_nop 0
	v_addc_co_u32_e32 v5, vcc, 0, v27, vcc
	v_fma_f64 v[250:251], v[10:11], v[158:159], -v[16:17]
	v_add_co_u32_e32 v16, vcc, s22, v26
	v_fmac_f64_e32 v[238:239], v[8:9], v[162:163]
	s_nop 0
	v_addc_co_u32_e32 v17, vcc, 0, v27, vcc
	v_add_f64 v[24:25], v[250:251], -v[24:25]
	s_waitcnt vmcnt(2) lgkmcnt(10)
	v_mul_f64 v[2:3], v[188:189], v[176:177]
	v_fma_f64 v[242:243], v[186:187], v[174:175], -v[2:3]
	s_waitcnt vmcnt(0) lgkmcnt(9)
	v_mul_f64 v[2:3], v[184:185], v[172:173]
	v_mul_f64 v[244:245], v[186:187], v[176:177]
	v_fma_f64 v[246:247], v[182:183], v[170:171], -v[2:3]
	v_mul_f64 v[248:249], v[182:183], v[172:173]
	s_waitcnt lgkmcnt(8)
	v_mul_f64 v[2:3], v[180:181], v[168:169]
	v_mul_f64 v[32:33], v[178:179], v[168:169]
	v_fmac_f64_e32 v[244:245], v[188:189], v[174:175]
	v_fmac_f64_e32 v[248:249], v[184:185], v[170:171]
	v_fma_f64 v[30:31], v[178:179], v[166:167], -v[2:3]
	v_fmac_f64_e32 v[32:33], v[180:181], v[166:167]
	v_lshl_add_u64 v[2:3], v[26:27], 0, s[6:7]
	global_load_dwordx4 v[182:185], v[4:5], off offset:4032
	global_load_dwordx4 v[178:181], v[2:3], off offset:32
	;; [unrolled: 1-line block ×3, first 2 shown]
	s_mov_b64 s[6:7], 0x87c0
	v_lshl_add_u64 v[6:7], v[26:27], 0, s[6:7]
	s_waitcnt vmcnt(2) lgkmcnt(6)
	v_mul_f64 v[2:3], v[200:201], v[184:185]
	v_fma_f64 v[28:29], v[198:199], v[182:183], -v[2:3]
	s_waitcnt vmcnt(0) lgkmcnt(5)
	v_mul_f64 v[2:3], v[196:197], v[188:189]
	v_mul_f64 v[234:235], v[198:199], v[184:185]
	v_fma_f64 v[20:21], v[194:195], v[186:187], -v[2:3]
	v_mul_f64 v[10:11], v[194:195], v[188:189]
	s_waitcnt lgkmcnt(4)
	v_mul_f64 v[2:3], v[192:193], v[180:181]
	v_mul_f64 v[8:9], v[190:191], v[180:181]
	v_fmac_f64_e32 v[234:235], v[200:201], v[182:183]
	v_fmac_f64_e32 v[10:11], v[196:197], v[186:187]
	v_fma_f64 v[12:13], v[190:191], v[178:179], -v[2:3]
	v_fmac_f64_e32 v[8:9], v[192:193], v[178:179]
	global_load_dwordx4 v[198:201], v[16:17], off offset:1984
	global_load_dwordx4 v[190:193], v[6:7], off offset:32
	global_load_dwordx4 v[194:197], v[6:7], off offset:16
	v_add_f64 v[12:13], v[28:29], -v[12:13]
	s_waitcnt vmcnt(2) lgkmcnt(2)
	v_mul_f64 v[6:7], v[232:233], v[200:201]
	v_mul_f64 v[0:1], v[230:231], v[200:201]
	s_waitcnt vmcnt(0) lgkmcnt(1)
	v_mul_f64 v[16:17], v[228:229], v[196:197]
	v_fma_f64 v[44:45], v[226:227], v[194:195], -v[16:17]
	s_waitcnt lgkmcnt(0)
	v_mul_f64 v[16:17], v[224:225], v[192:193]
	v_fma_f64 v[48:49], v[222:223], v[190:191], -v[16:17]
	v_add_f64 v[16:17], v[218:219], -v[40:41]
	v_fma_f64 v[26:27], v[218:219], 2.0, -v[16:17]
	v_fma_f64 v[40:41], v[220:221], 2.0, -v[18:19]
	v_fma_f64 v[6:7], v[230:231], v[198:199], -v[6:7]
	v_fmac_f64_e32 v[0:1], v[232:233], v[198:199]
	v_mul_f64 v[4:5], v[226:227], v[196:197]
	v_add_f64 v[218:219], v[26:27], -v[36:37]
	v_add_f64 v[220:221], v[40:41], -v[22:23]
	;; [unrolled: 1-line block ×3, first 2 shown]
	v_add_f64 v[232:233], v[18:19], v[38:39]
	v_add_f64 v[14:15], v[214:215], -v[236:237]
	v_add_f64 v[22:23], v[216:217], -v[238:239]
	v_add_f64 v[38:39], v[252:253], -v[240:241]
	v_fmac_f64_e32 v[4:5], v[228:229], v[194:195]
	v_mul_f64 v[2:3], v[222:223], v[192:193]
	v_fma_f64 v[226:227], v[26:27], 2.0, -v[218:219]
	v_fma_f64 v[228:229], v[40:41], 2.0, -v[220:221]
	;; [unrolled: 1-line block ×6, first 2 shown]
	v_add_f64 v[250:251], v[14:15], -v[38:39]
	v_fmac_f64_e32 v[2:3], v[224:225], v[190:191]
	v_add_f64 v[222:223], v[26:27], -v[40:41]
	v_add_f64 v[224:225], v[36:37], -v[214:215]
	v_add_f64 v[252:253], v[22:23], v[24:25]
	v_fma_f64 v[24:25], v[14:15], 2.0, -v[250:251]
	v_add_f64 v[14:15], v[210:211], -v[246:247]
	v_add_f64 v[40:41], v[242:243], -v[30:31]
	v_add_f64 v[30:31], v[244:245], -v[32:33]
	v_fma_f64 v[214:215], v[26:27], 2.0, -v[222:223]
	v_fma_f64 v[216:217], v[36:37], 2.0, -v[224:225]
	;; [unrolled: 1-line block ×3, first 2 shown]
	v_add_f64 v[22:23], v[212:213], -v[248:249]
	v_fma_f64 v[36:37], v[210:211], 2.0, -v[14:15]
	v_fma_f64 v[32:33], v[242:243], 2.0, -v[40:41]
	;; [unrolled: 1-line block ×3, first 2 shown]
	v_add_f64 v[30:31], v[14:15], -v[30:31]
	v_add_f64 v[238:239], v[36:37], -v[32:33]
	v_add_f64 v[32:33], v[22:23], v[40:41]
	v_fma_f64 v[242:243], v[14:15], 2.0, -v[30:31]
	v_add_f64 v[14:15], v[206:207], -v[20:21]
	v_fma_f64 v[38:39], v[212:213], 2.0, -v[22:23]
	v_fma_f64 v[244:245], v[22:23], 2.0, -v[32:33]
	v_add_f64 v[20:21], v[208:209], -v[10:11]
	v_fma_f64 v[22:23], v[206:207], 2.0, -v[14:15]
	v_add_f64 v[40:41], v[234:235], -v[8:9]
	;; [unrolled: 2-line block ×4, first 2 shown]
	v_add_f64 v[234:235], v[14:15], -v[40:41]
	v_add_f64 v[236:237], v[20:21], v[12:13]
	v_add_f64 v[28:29], v[202:203], -v[44:45]
	v_add_f64 v[4:5], v[204:205], -v[4:5]
	;; [unrolled: 1-line block ×4, first 2 shown]
	v_fma_f64 v[246:247], v[36:37], 2.0, -v[238:239]
	v_fma_f64 v[248:249], v[38:39], 2.0, -v[240:241]
	;; [unrolled: 1-line block ×10, first 2 shown]
	v_add_f64 v[10:11], v[38:39], -v[10:11]
	v_add_f64 v[206:207], v[20:21], -v[6:7]
	;; [unrolled: 1-line block ×4, first 2 shown]
	v_add_f64 v[204:205], v[4:5], v[40:41]
	v_fma_f64 v[16:17], v[16:17], 2.0, -v[230:231]
	v_fma_f64 v[18:19], v[18:19], 2.0, -v[232:233]
	;; [unrolled: 1-line block ×7, first 2 shown]
	ds_write_b128 v35, v[226:229]
	ds_write_b128 v35, v[16:19] offset:10240
	ds_write_b128 v35, v[218:221] offset:20480
	;; [unrolled: 1-line block ×19, first 2 shown]
	s_waitcnt lgkmcnt(0)
	s_barrier
	ds_read_b128 v[0:3], v35
	global_load_dwordx4 v[4:7], v35, s[14:15]
	s_waitcnt vmcnt(0) lgkmcnt(0)
	v_mul_f64 v[8:9], v[2:3], v[6:7]
	v_mul_f64 v[10:11], v[0:1], v[6:7]
	v_fma_f64 v[8:9], v[0:1], v[4:5], -v[8:9]
	v_fmac_f64_e32 v[10:11], v[2:3], v[4:5]
	v_accvgpr_read_b32 v4, a68
	global_load_dwordx4 v[4:7], v4, s[14:15]
	ds_read_b128 v[0:3], v35 offset:10240
	ds_write_b128 v35, v[8:11]
	s_waitcnt vmcnt(0) lgkmcnt(1)
	v_mul_f64 v[8:9], v[2:3], v[6:7]
	v_mul_f64 v[10:11], v[0:1], v[6:7]
	v_fma_f64 v[8:9], v[0:1], v[4:5], -v[8:9]
	v_fmac_f64_e32 v[10:11], v[2:3], v[4:5]
	v_accvgpr_read_b32 v4, a69
	global_load_dwordx4 v[4:7], v4, s[14:15]
	ds_read_b128 v[0:3], v35 offset:20480
	ds_write_b128 v35, v[8:11] offset:10240
	s_waitcnt vmcnt(0) lgkmcnt(1)
	v_mul_f64 v[8:9], v[2:3], v[6:7]
	v_mul_f64 v[10:11], v[0:1], v[6:7]
	v_fma_f64 v[8:9], v[0:1], v[4:5], -v[8:9]
	v_fmac_f64_e32 v[10:11], v[2:3], v[4:5]
	v_accvgpr_read_b32 v4, a70
	global_load_dwordx4 v[4:7], v4, s[14:15]
	ds_read_b128 v[0:3], v35 offset:30720
	ds_write_b128 v35, v[8:11] offset:20480
	s_waitcnt vmcnt(0) lgkmcnt(1)
	v_mul_f64 v[8:9], v[2:3], v[6:7]
	v_mul_f64 v[10:11], v[0:1], v[6:7]
	v_fma_f64 v[8:9], v[0:1], v[4:5], -v[8:9]
	v_fmac_f64_e32 v[10:11], v[2:3], v[4:5]
	ds_read_b128 v[0:3], v35 offset:2048
	global_load_dwordx4 v[4:7], v35, s[14:15] offset:2048
	ds_write_b128 v35, v[8:11] offset:30720
	s_waitcnt vmcnt(0) lgkmcnt(1)
	v_mul_f64 v[8:9], v[2:3], v[6:7]
	v_mul_f64 v[10:11], v[0:1], v[6:7]
	v_fma_f64 v[8:9], v[0:1], v[4:5], -v[8:9]
	v_fmac_f64_e32 v[10:11], v[2:3], v[4:5]
	v_accvgpr_read_b32 v4, a65
	global_load_dwordx4 v[4:7], v4, s[14:15]
	ds_read_b128 v[0:3], v35 offset:12288
	ds_write_b128 v35, v[8:11] offset:2048
	s_waitcnt vmcnt(0) lgkmcnt(1)
	v_mul_f64 v[8:9], v[2:3], v[6:7]
	v_mul_f64 v[10:11], v[0:1], v[6:7]
	v_fma_f64 v[8:9], v[0:1], v[4:5], -v[8:9]
	v_fmac_f64_e32 v[10:11], v[2:3], v[4:5]
	v_accvgpr_read_b32 v4, a66
	global_load_dwordx4 v[4:7], v4, s[14:15]
	ds_read_b128 v[0:3], v35 offset:22528
	;; [unrolled: 9-line block ×15, first 2 shown]
	ds_write_b128 v35, v[8:11] offset:28672
	s_waitcnt vmcnt(0) lgkmcnt(1)
	v_mul_f64 v[8:9], v[2:3], v[6:7]
	v_mul_f64 v[10:11], v[0:1], v[6:7]
	v_fma_f64 v[8:9], v[0:1], v[4:5], -v[8:9]
	v_fmac_f64_e32 v[10:11], v[2:3], v[4:5]
	ds_write_b128 v35, v[8:11] offset:38912
	s_waitcnt lgkmcnt(0)
	s_barrier
	ds_read_b128 v[24:27], v35
	ds_read_b128 v[28:31], v35 offset:10240
	ds_read_b128 v[230:233], v35 offset:20480
	;; [unrolled: 1-line block ×19, first 2 shown]
	s_waitcnt lgkmcnt(14)
	v_add_f64 v[32:33], v[24:25], -v[230:231]
	v_add_f64 v[36:37], v[26:27], -v[232:233]
	;; [unrolled: 1-line block ×4, first 2 shown]
	v_add_f64 v[234:235], v[32:33], v[40:41]
	v_add_f64 v[236:237], v[36:37], -v[38:39]
	v_fma_f64 v[24:25], v[24:25], 2.0, -v[32:33]
	v_fma_f64 v[26:27], v[26:27], 2.0, -v[36:37]
	;; [unrolled: 1-line block ×6, first 2 shown]
	s_waitcnt lgkmcnt(13)
	v_add_f64 v[32:33], v[20:21], -v[250:251]
	v_add_f64 v[36:37], v[22:23], -v[252:253]
	s_waitcnt lgkmcnt(12)
	v_add_f64 v[38:39], v[12:13], -v[238:239]
	v_add_f64 v[40:41], v[14:15], -v[240:241]
	v_fma_f64 v[20:21], v[20:21], 2.0, -v[32:33]
	v_fma_f64 v[22:23], v[22:23], 2.0, -v[36:37]
	;; [unrolled: 1-line block ×4, first 2 shown]
	v_add_f64 v[230:231], v[24:25], -v[28:29]
	v_add_f64 v[232:233], v[26:27], -v[30:31]
	;; [unrolled: 1-line block ×4, first 2 shown]
	v_add_f64 v[12:13], v[32:33], v[40:41]
	v_add_f64 v[14:15], v[36:37], -v[38:39]
	v_fma_f64 v[28:29], v[24:25], 2.0, -v[230:231]
	v_fma_f64 v[30:31], v[26:27], 2.0, -v[232:233]
	;; [unrolled: 1-line block ×6, first 2 shown]
	s_waitcnt lgkmcnt(9)
	v_add_f64 v[32:33], v[0:1], -v[16:17]
	v_add_f64 v[36:37], v[2:3], -v[18:19]
	s_waitcnt lgkmcnt(8)
	v_add_f64 v[8:9], v[4:5], -v[8:9]
	v_add_f64 v[10:11], v[6:7], -v[10:11]
	v_fma_f64 v[0:1], v[0:1], 2.0, -v[32:33]
	v_fma_f64 v[2:3], v[2:3], 2.0, -v[36:37]
	v_fma_f64 v[4:5], v[4:5], 2.0, -v[8:9]
	v_fma_f64 v[6:7], v[6:7], 2.0, -v[10:11]
	v_add_f64 v[4:5], v[0:1], -v[4:5]
	v_add_f64 v[6:7], v[2:3], -v[6:7]
	v_fma_f64 v[16:17], v[0:1], 2.0, -v[4:5]
	v_fma_f64 v[18:19], v[2:3], 2.0, -v[6:7]
	v_add_f64 v[0:1], v[32:33], v[10:11]
	v_add_f64 v[2:3], v[36:37], -v[8:9]
	v_fma_f64 v[8:9], v[32:33], 2.0, -v[0:1]
	v_fma_f64 v[10:11], v[36:37], 2.0, -v[2:3]
	s_waitcnt lgkmcnt(5)
	v_add_f64 v[32:33], v[214:215], -v[246:247]
	v_add_f64 v[36:37], v[216:217], -v[248:249]
	s_waitcnt lgkmcnt(4)
	v_add_f64 v[44:45], v[210:211], -v[226:227]
	v_add_f64 v[48:49], v[212:213], -v[228:229]
	v_fma_f64 v[38:39], v[214:215], 2.0, -v[32:33]
	v_fma_f64 v[40:41], v[216:217], 2.0, -v[36:37]
	v_fma_f64 v[210:211], v[210:211], 2.0, -v[44:45]
	v_fma_f64 v[212:213], v[212:213], 2.0, -v[48:49]
	v_add_f64 v[214:215], v[38:39], -v[210:211]
	v_add_f64 v[216:217], v[40:41], -v[212:213]
	v_add_f64 v[210:211], v[32:33], v[48:49]
	v_add_f64 v[212:213], v[36:37], -v[44:45]
	v_fma_f64 v[226:227], v[32:33], 2.0, -v[210:211]
	v_fma_f64 v[228:229], v[36:37], 2.0, -v[212:213]
	s_waitcnt lgkmcnt(1)
	v_add_f64 v[32:33], v[206:207], -v[222:223]
	v_add_f64 v[36:37], v[208:209], -v[224:225]
	s_waitcnt lgkmcnt(0)
	v_add_f64 v[44:45], v[202:203], -v[218:219]
	v_add_f64 v[48:49], v[204:205], -v[220:221]
	s_barrier
	ds_write_b128 v47, v[28:31]
	ds_write_b128 v47, v[242:245] offset:16
	ds_write_b128 v47, v[230:233] offset:32
	;; [unrolled: 1-line block ×4, first 2 shown]
	v_accvgpr_read_b32 v24, a63
	v_fma_f64 v[246:247], v[38:39], 2.0, -v[214:215]
	v_fma_f64 v[248:249], v[40:41], 2.0, -v[216:217]
	v_fma_f64 v[38:39], v[206:207], 2.0, -v[32:33]
	v_fma_f64 v[40:41], v[208:209], 2.0, -v[36:37]
	v_fma_f64 v[202:203], v[202:203], 2.0, -v[44:45]
	v_fma_f64 v[204:205], v[204:205], 2.0, -v[48:49]
	ds_write_b128 v24, v[20:23] offset:16
	ds_write_b128 v24, v[250:253] offset:32
	;; [unrolled: 1-line block ×4, first 2 shown]
	v_accvgpr_read_b32 v12, a62
	v_add_f64 v[206:207], v[38:39], -v[202:203]
	v_add_f64 v[208:209], v[40:41], -v[204:205]
	v_add_f64 v[202:203], v[32:33], v[48:49]
	v_add_f64 v[204:205], v[36:37], -v[44:45]
	ds_write_b128 v12, v[8:11] offset:16
	ds_write_b128 v12, v[4:7] offset:32
	;; [unrolled: 1-line block ×4, first 2 shown]
	v_accvgpr_read_b32 v0, a61
	v_fma_f64 v[222:223], v[38:39], 2.0, -v[206:207]
	v_fma_f64 v[224:225], v[40:41], 2.0, -v[208:209]
	;; [unrolled: 1-line block ×4, first 2 shown]
	ds_write_b128 v0, v[226:229] offset:16
	ds_write_b128 v0, v[214:217] offset:32
	;; [unrolled: 1-line block ×4, first 2 shown]
	v_accvgpr_read_b32 v0, a60
	ds_write_b128 v0, v[218:221] offset:16
	ds_write_b128 v0, v[206:209] offset:32
	;; [unrolled: 1-line block ×3, first 2 shown]
	s_waitcnt lgkmcnt(0)
	s_barrier
	ds_read_b128 v[206:209], v35
	ds_read_b128 v[10:13], v35 offset:10240
	ds_read_b128 v[14:17], v35 offset:20480
	;; [unrolled: 1-line block ×19, first 2 shown]
	s_waitcnt lgkmcnt(14)
	v_mul_f64 v[8:9], v[140:141], v[12:13]
	v_fmac_f64_e32 v[8:9], v[138:139], v[10:11]
	v_mul_f64 v[10:11], v[140:141], v[10:11]
	v_fma_f64 v[10:11], v[138:139], v[12:13], -v[10:11]
	v_mul_f64 v[12:13], v[136:137], v[16:17]
	v_fmac_f64_e32 v[12:13], v[134:135], v[14:15]
	v_mul_f64 v[14:15], v[136:137], v[14:15]
	v_fma_f64 v[16:17], v[134:135], v[16:17], -v[14:15]
	;; [unrolled: 4-line block ×4, first 2 shown]
	s_waitcnt lgkmcnt(13)
	v_mul_f64 v[24:25], v[136:137], v[28:29]
	v_fmac_f64_e32 v[24:25], v[134:135], v[26:27]
	v_mul_f64 v[26:27], v[136:137], v[26:27]
	v_fma_f64 v[28:29], v[134:135], v[28:29], -v[26:27]
	s_waitcnt lgkmcnt(12)
	v_mul_f64 v[26:27], v[132:133], v[32:33]
	v_fmac_f64_e32 v[26:27], v[130:131], v[30:31]
	v_mul_f64 v[30:31], v[132:133], v[30:31]
	v_fma_f64 v[30:31], v[130:131], v[32:33], -v[30:31]
	s_waitcnt lgkmcnt(10)
	v_mul_f64 v[32:33], v[140:141], v[224:225]
	v_mul_f64 v[36:37], v[140:141], v[222:223]
	s_waitcnt lgkmcnt(6)
	v_mul_f64 v[40:41], v[140:141], v[236:237]
	v_fmac_f64_e32 v[32:33], v[138:139], v[222:223]
	v_fma_f64 v[222:223], v[138:139], v[224:225], -v[36:37]
	v_mul_f64 v[224:225], v[136:137], v[228:229]
	v_mul_f64 v[36:37], v[136:137], v[226:227]
	v_fmac_f64_e32 v[40:41], v[138:139], v[234:235]
	v_mul_f64 v[44:45], v[140:141], v[234:235]
	s_waitcnt lgkmcnt(1)
	v_mul_f64 v[234:235], v[136:137], v[6:7]
	v_fmac_f64_e32 v[224:225], v[134:135], v[226:227]
	v_fma_f64 v[36:37], v[134:135], v[228:229], -v[36:37]
	v_mul_f64 v[226:227], v[132:133], v[232:233]
	v_mul_f64 v[48:49], v[136:137], v[240:241]
	;; [unrolled: 1-line block ×3, first 2 shown]
	v_fmac_f64_e32 v[234:235], v[134:135], v[4:5]
	v_mul_f64 v[4:5], v[136:137], v[4:5]
	s_waitcnt lgkmcnt(0)
	v_mul_f64 v[136:137], v[132:133], v[2:3]
	v_fmac_f64_e32 v[226:227], v[130:131], v[230:231]
	v_mul_f64 v[38:39], v[132:133], v[230:231]
	v_mul_f64 v[250:251], v[132:133], v[244:245]
	;; [unrolled: 1-line block ×3, first 2 shown]
	v_fmac_f64_e32 v[136:137], v[130:131], v[0:1]
	v_mul_f64 v[0:1], v[132:133], v[0:1]
	v_fma_f64 v[38:39], v[130:131], v[232:233], -v[38:39]
	v_fmac_f64_e32 v[250:251], v[130:131], v[242:243]
	v_fma_f64 v[252:253], v[130:131], v[244:245], -v[230:231]
	v_mul_f64 v[230:231], v[140:141], v[248:249]
	v_mul_f64 v[140:141], v[140:141], v[246:247]
	v_fma_f64 v[130:131], v[130:131], v[2:3], -v[0:1]
	v_add_f64 v[0:1], v[206:207], -v[12:13]
	v_add_f64 v[2:3], v[208:209], -v[16:17]
	v_add_f64 v[12:13], v[8:9], -v[14:15]
	v_add_f64 v[14:15], v[10:11], -v[18:19]
	v_fmac_f64_e32 v[48:49], v[134:135], v[238:239]
	v_fma_f64 v[228:229], v[134:135], v[240:241], -v[228:229]
	v_fmac_f64_e32 v[230:231], v[138:139], v[246:247]
	v_fma_f64 v[232:233], v[138:139], v[248:249], -v[140:141]
	v_fma_f64 v[134:135], v[134:135], v[6:7], -v[4:5]
	v_fma_f64 v[4:5], v[206:207], 2.0, -v[0:1]
	v_fma_f64 v[6:7], v[208:209], 2.0, -v[2:3]
	;; [unrolled: 1-line block ×4, first 2 shown]
	v_add_f64 v[246:247], v[0:1], v[14:15]
	v_add_f64 v[248:249], v[2:3], -v[12:13]
	v_add_f64 v[8:9], v[4:5], -v[8:9]
	;; [unrolled: 1-line block ×3, first 2 shown]
	v_fma_f64 v[12:13], v[0:1], 2.0, -v[246:247]
	v_fma_f64 v[14:15], v[2:3], 2.0, -v[248:249]
	v_add_f64 v[0:1], v[202:203], -v[24:25]
	v_add_f64 v[2:3], v[204:205], -v[28:29]
	;; [unrolled: 1-line block ×4, first 2 shown]
	v_fma_f64 v[16:17], v[4:5], 2.0, -v[8:9]
	v_fma_f64 v[18:19], v[6:7], 2.0, -v[10:11]
	;; [unrolled: 1-line block ×6, first 2 shown]
	v_fma_f64 v[44:45], v[138:139], v[236:237], -v[44:45]
	v_add_f64 v[242:243], v[4:5], -v[20:21]
	v_add_f64 v[244:245], v[6:7], -v[22:23]
	;; [unrolled: 1-line block ×6, first 2 shown]
	v_add_f64 v[238:239], v[0:1], v[26:27]
	v_add_f64 v[240:241], v[2:3], -v[24:25]
	v_fma_f64 v[24:25], v[210:211], 2.0, -v[20:21]
	v_fma_f64 v[26:27], v[212:213], 2.0, -v[22:23]
	v_fma_f64 v[32:33], v[32:33], 2.0, -v[28:29]
	v_fma_f64 v[36:37], v[222:223], 2.0, -v[30:31]
	v_add_f64 v[206:207], v[20:21], v[30:31]
	v_add_f64 v[208:209], v[22:23], -v[28:29]
	v_add_f64 v[28:29], v[218:219], -v[48:49]
	;; [unrolled: 1-line block ×7, first 2 shown]
	v_fma_f64 v[32:33], v[218:219], 2.0, -v[28:29]
	v_fma_f64 v[36:37], v[220:221], 2.0, -v[30:31]
	;; [unrolled: 1-line block ×4, first 2 shown]
	v_add_f64 v[138:139], v[28:29], v[48:49]
	v_add_f64 v[140:141], v[30:31], -v[38:39]
	v_fma_f64 v[0:1], v[0:1], 2.0, -v[238:239]
	v_add_f64 v[202:203], v[32:33], -v[40:41]
	v_add_f64 v[204:205], v[36:37], -v[44:45]
	v_fma_f64 v[222:223], v[28:29], 2.0, -v[138:139]
	v_fma_f64 v[224:225], v[30:31], 2.0, -v[140:141]
	v_add_f64 v[28:29], v[214:215], -v[234:235]
	v_add_f64 v[30:31], v[216:217], -v[134:135]
	;; [unrolled: 1-line block ×4, first 2 shown]
	v_fma_f64 v[4:5], v[4:5], 2.0, -v[242:243]
	v_fma_f64 v[6:7], v[6:7], 2.0, -v[244:245]
	;; [unrolled: 1-line block ×11, first 2 shown]
	s_barrier
	ds_write_b128 v254, v[16:19]
	ds_write_b128 v254, v[12:15] offset:64
	ds_write_b128 v254, v[8:11] offset:128
	;; [unrolled: 1-line block ×3, first 2 shown]
	ds_write_b128 v255, v[4:7]
	ds_write_b128 v255, v[0:3] offset:64
	ds_write_b128 v255, v[242:245] offset:128
	;; [unrolled: 1-line block ×3, first 2 shown]
	v_accvgpr_read_b32 v0, a58
	v_fma_f64 v[20:21], v[20:21], 2.0, -v[206:207]
	v_fma_f64 v[22:23], v[22:23], 2.0, -v[208:209]
	v_add_f64 v[134:135], v[32:33], -v[44:45]
	v_add_f64 v[136:137], v[36:37], -v[48:49]
	v_add_f64 v[130:131], v[28:29], v[40:41]
	v_add_f64 v[132:133], v[30:31], -v[38:39]
	ds_write_b128 v0, v[24:27]
	ds_write_b128 v0, v[20:23] offset:64
	ds_write_b128 v0, v[210:213] offset:128
	;; [unrolled: 1-line block ×3, first 2 shown]
	v_accvgpr_read_b32 v0, a57
	v_fma_f64 v[218:219], v[32:33], 2.0, -v[134:135]
	v_fma_f64 v[220:221], v[36:37], 2.0, -v[136:137]
	;; [unrolled: 1-line block ×4, first 2 shown]
	ds_write_b128 v0, v[226:229]
	ds_write_b128 v0, v[222:225] offset:64
	ds_write_b128 v0, v[202:205] offset:128
	;; [unrolled: 1-line block ×3, first 2 shown]
	v_accvgpr_read_b32 v0, a59
	ds_write_b128 v0, v[218:221]
	ds_write_b128 v0, v[214:217] offset:64
	ds_write_b128 v0, v[134:137] offset:128
	;; [unrolled: 1-line block ×3, first 2 shown]
	s_waitcnt lgkmcnt(0)
	s_barrier
	ds_read_b128 v[130:133], v35
	ds_read_b128 v[10:13], v35 offset:10240
	ds_read_b128 v[14:17], v35 offset:20480
	;; [unrolled: 1-line block ×19, first 2 shown]
	s_waitcnt lgkmcnt(14)
	v_mul_f64 v[8:9], v[128:129], v[12:13]
	v_fmac_f64_e32 v[8:9], v[126:127], v[10:11]
	v_mul_f64 v[10:11], v[128:129], v[10:11]
	v_fma_f64 v[10:11], v[126:127], v[12:13], -v[10:11]
	v_mul_f64 v[12:13], v[124:125], v[16:17]
	v_fmac_f64_e32 v[12:13], v[122:123], v[14:15]
	v_mul_f64 v[14:15], v[124:125], v[14:15]
	v_fma_f64 v[16:17], v[122:123], v[16:17], -v[14:15]
	;; [unrolled: 4-line block ×4, first 2 shown]
	s_waitcnt lgkmcnt(13)
	v_mul_f64 v[24:25], v[124:125], v[28:29]
	v_fmac_f64_e32 v[24:25], v[122:123], v[26:27]
	v_mul_f64 v[26:27], v[124:125], v[26:27]
	v_fma_f64 v[28:29], v[122:123], v[28:29], -v[26:27]
	s_waitcnt lgkmcnt(12)
	v_mul_f64 v[26:27], v[120:121], v[32:33]
	v_fmac_f64_e32 v[26:27], v[118:119], v[30:31]
	v_mul_f64 v[30:31], v[120:121], v[30:31]
	v_fma_f64 v[30:31], v[118:119], v[32:33], -v[30:31]
	s_waitcnt lgkmcnt(10)
	v_mul_f64 v[32:33], v[128:129], v[208:209]
	v_fmac_f64_e32 v[32:33], v[126:127], v[206:207]
	v_mul_f64 v[36:37], v[128:129], v[206:207]
	s_waitcnt lgkmcnt(9)
	v_mul_f64 v[40:41], v[124:125], v[210:211]
	s_waitcnt lgkmcnt(8)
	;; [unrolled: 2-line block ×3, first 2 shown]
	v_mul_f64 v[206:207], v[128:129], v[218:219]
	v_mul_f64 v[38:39], v[124:125], v[212:213]
	v_fma_f64 v[40:41], v[122:123], v[212:213], -v[40:41]
	v_fmac_f64_e32 v[44:45], v[118:119], v[214:215]
	v_mul_f64 v[48:49], v[120:121], v[214:215]
	v_fma_f64 v[212:213], v[126:127], v[220:221], -v[206:207]
	s_waitcnt lgkmcnt(5)
	v_mul_f64 v[214:215], v[124:125], v[224:225]
	v_mul_f64 v[206:207], v[124:125], v[222:223]
	s_waitcnt lgkmcnt(1)
	v_mul_f64 v[246:247], v[124:125], v[236:237]
	v_mul_f64 v[124:125], v[124:125], v[234:235]
	v_fmac_f64_e32 v[38:39], v[122:123], v[210:211]
	v_fma_f64 v[48:49], v[118:119], v[216:217], -v[48:49]
	v_mul_f64 v[210:211], v[128:129], v[220:221]
	v_fmac_f64_e32 v[214:215], v[122:123], v[222:223]
	v_fma_f64 v[216:217], v[122:123], v[224:225], -v[206:207]
	v_fmac_f64_e32 v[246:247], v[122:123], v[234:235]
	v_fma_f64 v[122:123], v[122:123], v[236:237], -v[124:125]
	s_waitcnt lgkmcnt(0)
	v_mul_f64 v[124:125], v[120:121], v[6:7]
	v_fmac_f64_e32 v[210:211], v[126:127], v[218:219]
	v_mul_f64 v[218:219], v[120:121], v[228:229]
	v_mul_f64 v[206:207], v[120:121], v[226:227]
	v_fmac_f64_e32 v[124:125], v[118:119], v[4:5]
	v_mul_f64 v[4:5], v[120:121], v[4:5]
	v_fmac_f64_e32 v[218:219], v[118:119], v[226:227]
	v_fma_f64 v[220:221], v[118:119], v[228:229], -v[206:207]
	v_mul_f64 v[242:243], v[128:129], v[232:233]
	v_mul_f64 v[128:129], v[128:129], v[230:231]
	v_fma_f64 v[118:119], v[118:119], v[6:7], -v[4:5]
	v_add_f64 v[4:5], v[130:131], -v[12:13]
	v_add_f64 v[14:15], v[8:9], -v[14:15]
	v_fma_f64 v[36:37], v[126:127], v[208:209], -v[36:37]
	v_fmac_f64_e32 v[242:243], v[126:127], v[230:231]
	v_fma_f64 v[244:245], v[126:127], v[232:233], -v[128:129]
	v_fma_f64 v[12:13], v[130:131], 2.0, -v[4:5]
	v_add_f64 v[126:127], v[10:11], -v[18:19]
	v_fma_f64 v[8:9], v[8:9], 2.0, -v[14:15]
	v_add_f64 v[6:7], v[132:133], -v[16:17]
	v_add_f64 v[8:9], v[12:13], -v[8:9]
	v_add_f64 v[238:239], v[4:5], v[126:127]
	v_add_f64 v[24:25], v[134:135], -v[24:25]
	v_add_f64 v[28:29], v[136:137], -v[28:29]
	;; [unrolled: 1-line block ×3, first 2 shown]
	v_fma_f64 v[16:17], v[12:13], 2.0, -v[8:9]
	v_add_f64 v[240:241], v[6:7], -v[14:15]
	v_fma_f64 v[12:13], v[4:5], 2.0, -v[238:239]
	v_fma_f64 v[4:5], v[134:135], 2.0, -v[24:25]
	v_add_f64 v[30:31], v[22:23], -v[30:31]
	v_fma_f64 v[20:21], v[20:21], 2.0, -v[26:27]
	v_add_f64 v[208:209], v[28:29], -v[26:27]
	v_fma_f64 v[120:121], v[132:133], 2.0, -v[6:7]
	v_fma_f64 v[14:15], v[6:7], 2.0, -v[240:241]
	;; [unrolled: 1-line block ×4, first 2 shown]
	v_add_f64 v[230:231], v[4:5], -v[20:21]
	v_add_f64 v[206:207], v[24:25], v[30:31]
	v_fma_f64 v[236:237], v[28:29], 2.0, -v[208:209]
	v_add_f64 v[20:21], v[138:139], -v[38:39]
	v_add_f64 v[28:29], v[32:33], -v[44:45]
	;; [unrolled: 1-line block ×4, first 2 shown]
	v_fma_f64 v[234:235], v[24:25], 2.0, -v[206:207]
	v_add_f64 v[22:23], v[140:141], -v[40:41]
	v_fma_f64 v[24:25], v[138:139], 2.0, -v[20:21]
	v_fma_f64 v[32:33], v[32:33], 2.0, -v[28:29]
	v_add_f64 v[134:135], v[20:21], v[30:31]
	v_add_f64 v[138:139], v[24:25], -v[32:33]
	v_add_f64 v[136:137], v[22:23], -v[28:29]
	v_fma_f64 v[222:223], v[20:21], 2.0, -v[134:135]
	v_add_f64 v[20:21], v[202:203], -v[214:215]
	v_add_f64 v[28:29], v[210:211], -v[218:219]
	v_fma_f64 v[36:37], v[36:37], 2.0, -v[30:31]
	v_fma_f64 v[226:227], v[24:25], 2.0, -v[138:139]
	v_fma_f64 v[24:25], v[202:203], 2.0, -v[20:21]
	v_add_f64 v[30:31], v[212:213], -v[220:221]
	v_fma_f64 v[32:33], v[210:211], 2.0, -v[28:29]
	v_fma_f64 v[10:11], v[10:11], 2.0, -v[126:127]
	v_add_f64 v[130:131], v[24:25], -v[32:33]
	v_add_f64 v[126:127], v[20:21], v[30:31]
	v_fma_f64 v[26:27], v[140:141], 2.0, -v[22:23]
	v_fma_f64 v[224:225], v[22:23], 2.0, -v[136:137]
	v_add_f64 v[22:23], v[204:205], -v[216:217]
	v_fma_f64 v[218:219], v[24:25], 2.0, -v[130:131]
	v_fma_f64 v[214:215], v[20:21], 2.0, -v[126:127]
	v_add_f64 v[20:21], v[0:1], -v[246:247]
	v_add_f64 v[24:25], v[242:243], -v[124:125]
	;; [unrolled: 1-line block ×4, first 2 shown]
	v_fma_f64 v[0:1], v[0:1], 2.0, -v[20:21]
	v_fma_f64 v[28:29], v[242:243], 2.0, -v[24:25]
	v_add_f64 v[10:11], v[120:121], -v[10:11]
	v_fma_f64 v[228:229], v[26:27], 2.0, -v[140:141]
	v_fma_f64 v[26:27], v[204:205], 2.0, -v[22:23]
	;; [unrolled: 1-line block ×4, first 2 shown]
	v_add_f64 v[22:23], v[2:3], -v[122:123]
	v_add_f64 v[122:123], v[0:1], -v[28:29]
	v_fma_f64 v[18:19], v[120:121], 2.0, -v[10:11]
	v_add_f64 v[132:133], v[26:27], -v[36:37]
	v_fma_f64 v[210:211], v[0:1], 2.0, -v[122:123]
	v_accvgpr_read_b32 v0, a56
	v_fma_f64 v[4:5], v[4:5], 2.0, -v[230:231]
	v_fma_f64 v[6:7], v[6:7], 2.0, -v[232:233]
	;; [unrolled: 1-line block ×3, first 2 shown]
	v_add_f64 v[26:27], v[244:245], -v[118:119]
	s_barrier
	ds_write_b128 v0, v[16:19]
	ds_write_b128 v0, v[12:15] offset:256
	ds_write_b128 v0, v[8:11] offset:512
	;; [unrolled: 1-line block ×3, first 2 shown]
	v_accvgpr_read_b32 v0, a53
	v_fma_f64 v[2:3], v[2:3], 2.0, -v[22:23]
	v_fma_f64 v[30:31], v[244:245], 2.0, -v[26:27]
	ds_write_b128 v0, v[4:7]
	ds_write_b128 v0, v[234:237] offset:256
	ds_write_b128 v0, v[230:233] offset:512
	;; [unrolled: 1-line block ×3, first 2 shown]
	v_accvgpr_read_b32 v0, a52
	v_add_f64 v[124:125], v[2:3], -v[30:31]
	ds_write_b128 v0, v[226:229]
	ds_write_b128 v0, v[222:225] offset:256
	ds_write_b128 v0, v[138:141] offset:512
	;; [unrolled: 1-line block ×3, first 2 shown]
	v_accvgpr_read_b32 v0, a54
	v_fma_f64 v[212:213], v[2:3], 2.0, -v[124:125]
	v_add_f64 v[118:119], v[20:21], v[26:27]
	v_add_f64 v[120:121], v[22:23], -v[24:25]
	ds_write_b128 v0, v[218:221]
	ds_write_b128 v0, v[214:217] offset:256
	ds_write_b128 v0, v[130:133] offset:512
	;; [unrolled: 1-line block ×3, first 2 shown]
	v_accvgpr_read_b32 v0, a55
	v_fma_f64 v[202:203], v[20:21], 2.0, -v[118:119]
	v_fma_f64 v[204:205], v[22:23], 2.0, -v[120:121]
	ds_write_b128 v0, v[210:213]
	ds_write_b128 v0, v[202:205] offset:256
	ds_write_b128 v0, v[122:125] offset:512
	ds_write_b128 v0, v[118:121] offset:768
	s_waitcnt lgkmcnt(0)
	s_barrier
	ds_read_b128 v[122:125], v35
	ds_read_b128 v[28:31], v35 offset:4096
	ds_read_b128 v[130:133], v35 offset:8192
	ds_read_b128 v[134:137], v35 offset:12288
	ds_read_b128 v[206:209], v35 offset:16384
	ds_read_b128 v[210:213], v35 offset:20480
	ds_read_b128 v[224:227], v35 offset:24576
	ds_read_b128 v[228:231], v35 offset:28672
	ds_read_b128 v[232:235], v35 offset:32768
	ds_read_b128 v[236:239], v35 offset:36864
	ds_read_b128 v[118:121], v35 offset:2048
	ds_read_b128 v[240:243], v35 offset:6144
	ds_read_b128 v[244:247], v35 offset:10240
	ds_read_b128 v[24:27], v35 offset:14336
	ds_read_b128 v[20:23], v35 offset:18432
	ds_read_b128 v[16:19], v35 offset:22528
	ds_read_b128 v[12:15], v35 offset:26624
	ds_read_b128 v[8:11], v35 offset:30720
	ds_read_b128 v[4:7], v35 offset:34816
	ds_read_b128 v[0:3], v35 offset:38912
	s_waitcnt lgkmcnt(14)
	v_mul_f64 v[126:127], v[108:109], v[30:31]
	v_fmac_f64_e32 v[126:127], v[106:107], v[28:29]
	v_mul_f64 v[28:29], v[108:109], v[28:29]
	v_fma_f64 v[128:129], v[106:107], v[30:31], -v[28:29]
	v_mul_f64 v[28:29], v[104:105], v[130:131]
	v_mul_f64 v[216:217], v[104:105], v[132:133]
	v_fma_f64 v[214:215], v[102:103], v[132:133], -v[28:29]
	s_waitcnt lgkmcnt(6)
	v_mul_f64 v[132:133], v[100:101], v[26:27]
	v_fmac_f64_e32 v[132:133], v[98:99], v[24:25]
	v_mul_f64 v[24:25], v[100:101], v[24:25]
	v_fma_f64 v[24:25], v[98:99], v[26:27], -v[24:25]
	s_waitcnt lgkmcnt(5)
	v_mul_f64 v[26:27], v[92:93], v[22:23]
	v_fmac_f64_e32 v[26:27], v[90:91], v[20:21]
	;; [unrolled: 5-line block ×4, first 2 shown]
	v_mul_f64 v[12:13], v[96:97], v[12:13]
	v_fma_f64 v[14:15], v[94:95], v[14:15], -v[12:13]
	s_waitcnt lgkmcnt(2)
	v_mul_f64 v[12:13], v[88:89], v[10:11]
	v_mul_f64 v[28:29], v[100:101], v[134:135]
	v_fmac_f64_e32 v[12:13], v[86:87], v[8:9]
	v_mul_f64 v[8:9], v[88:89], v[8:9]
	v_fma_f64 v[138:139], v[98:99], v[136:137], -v[28:29]
	v_mul_f64 v[28:29], v[92:93], v[206:207]
	v_fma_f64 v[8:9], v[86:87], v[10:11], -v[8:9]
	s_waitcnt lgkmcnt(1)
	v_mul_f64 v[10:11], v[84:85], v[6:7]
	v_fma_f64 v[30:31], v[90:91], v[208:209], -v[28:29]
	v_mul_f64 v[28:29], v[112:113], v[210:211]
	v_fmac_f64_e32 v[10:11], v[82:83], v[4:5]
	v_mul_f64 v[4:5], v[84:85], v[4:5]
	v_fma_f64 v[140:141], v[110:111], v[212:213], -v[28:29]
	v_mul_f64 v[28:29], v[96:97], v[224:225]
	v_fma_f64 v[6:7], v[82:83], v[6:7], -v[4:5]
	s_waitcnt lgkmcnt(0)
	v_mul_f64 v[4:5], v[116:117], v[2:3]
	v_fmac_f64_e32 v[216:217], v[102:103], v[130:131]
	v_mul_f64 v[220:221], v[92:93], v[208:209]
	v_fma_f64 v[32:33], v[94:95], v[226:227], -v[28:29]
	v_mul_f64 v[28:29], v[88:89], v[228:229]
	v_fmac_f64_e32 v[4:5], v[114:115], v[0:1]
	v_mul_f64 v[0:1], v[116:117], v[0:1]
	v_fmac_f64_e32 v[220:221], v[90:91], v[206:207]
	v_mul_f64 v[222:223], v[96:97], v[226:227]
	v_fma_f64 v[202:203], v[86:87], v[230:231], -v[28:29]
	v_mul_f64 v[28:29], v[84:85], v[232:233]
	v_fma_f64 v[0:1], v[114:115], v[2:3], -v[0:1]
	v_add_f64 v[2:3], v[122:123], v[216:217]
	v_fmac_f64_e32 v[222:223], v[94:95], v[224:225]
	v_mul_f64 v[224:225], v[84:85], v[234:235]
	v_fma_f64 v[218:219], v[82:83], v[234:235], -v[28:29]
	v_mul_f64 v[28:29], v[116:117], v[236:237]
	v_add_f64 v[2:3], v[2:3], v[220:221]
	v_fmac_f64_e32 v[224:225], v[82:83], v[232:233]
	v_fma_f64 v[206:207], v[114:115], v[238:239], -v[28:29]
	v_mul_f64 v[28:29], v[108:109], v[242:243]
	v_mul_f64 v[36:37], v[108:109], v[240:241]
	v_add_f64 v[2:3], v[2:3], v[222:223]
	v_mul_f64 v[204:205], v[100:101], v[136:137]
	v_fmac_f64_e32 v[28:29], v[106:107], v[240:241]
	v_fma_f64 v[130:131], v[106:107], v[242:243], -v[36:37]
	v_mul_f64 v[136:137], v[104:105], v[246:247]
	v_mul_f64 v[36:37], v[104:105], v[244:245]
	v_add_f64 v[106:107], v[2:3], v[224:225]
	v_add_f64 v[2:3], v[220:221], v[222:223]
	v_fmac_f64_e32 v[204:205], v[98:99], v[134:135]
	v_mul_f64 v[208:209], v[112:113], v[212:213]
	v_fmac_f64_e32 v[136:137], v[102:103], v[244:245]
	v_fma_f64 v[134:135], v[102:103], v[246:247], -v[36:37]
	v_fma_f64 v[102:103], -0.5, v[2:3], v[122:123]
	v_add_f64 v[2:3], v[214:215], -v[218:219]
	v_fmac_f64_e32 v[208:209], v[110:111], v[210:211]
	v_fma_f64 v[110:111], s[10:11], v[2:3], v[102:103]
	v_add_f64 v[36:37], v[30:31], -v[32:33]
	v_add_f64 v[38:39], v[216:217], -v[220:221]
	;; [unrolled: 1-line block ×3, first 2 shown]
	v_fmac_f64_e32 v[102:103], s[2:3], v[2:3]
	v_fmac_f64_e32 v[110:111], s[12:13], v[36:37]
	v_add_f64 v[38:39], v[38:39], v[40:41]
	v_fmac_f64_e32 v[102:103], s[4:5], v[36:37]
	v_fmac_f64_e32 v[110:111], s[8:9], v[38:39]
	;; [unrolled: 1-line block ×3, first 2 shown]
	v_add_f64 v[38:39], v[216:217], v[224:225]
	v_fmac_f64_e32 v[122:123], -0.5, v[38:39]
	v_fma_f64 v[38:39], s[2:3], v[36:37], v[122:123]
	v_fmac_f64_e32 v[122:123], s[10:11], v[36:37]
	v_fmac_f64_e32 v[38:39], s[12:13], v[2:3]
	;; [unrolled: 1-line block ×3, first 2 shown]
	v_add_f64 v[2:3], v[124:125], v[214:215]
	v_add_f64 v[2:3], v[2:3], v[30:31]
	v_add_f64 v[40:41], v[220:221], -v[216:217]
	v_add_f64 v[44:45], v[222:223], -v[224:225]
	v_add_f64 v[2:3], v[2:3], v[32:33]
	v_add_f64 v[40:41], v[40:41], v[44:45]
	;; [unrolled: 1-line block ×4, first 2 shown]
	v_fmac_f64_e32 v[38:39], s[8:9], v[40:41]
	v_fmac_f64_e32 v[122:123], s[8:9], v[40:41]
	v_fma_f64 v[2:3], -0.5, v[2:3], v[124:125]
	v_add_f64 v[40:41], v[216:217], -v[224:225]
	v_fma_f64 v[104:105], s[2:3], v[40:41], v[2:3]
	v_add_f64 v[44:45], v[220:221], -v[222:223]
	v_add_f64 v[48:49], v[214:215], -v[30:31]
	;; [unrolled: 1-line block ×3, first 2 shown]
	v_fmac_f64_e32 v[2:3], s[10:11], v[40:41]
	v_fmac_f64_e32 v[104:105], s[4:5], v[44:45]
	v_add_f64 v[48:49], v[48:49], v[82:83]
	v_fmac_f64_e32 v[2:3], s[12:13], v[44:45]
	v_mul_f64 v[210:211], v[88:89], v[230:231]
	v_fmac_f64_e32 v[104:105], s[8:9], v[48:49]
	v_fmac_f64_e32 v[2:3], s[8:9], v[48:49]
	v_add_f64 v[48:49], v[214:215], v[218:219]
	v_fmac_f64_e32 v[210:211], v[86:87], v[228:229]
	v_fmac_f64_e32 v[124:125], -0.5, v[48:49]
	v_add_f64 v[30:31], v[30:31], -v[214:215]
	v_add_f64 v[32:33], v[32:33], -v[218:219]
	v_mul_f64 v[212:213], v[116:117], v[238:239]
	v_fma_f64 v[108:109], s[10:11], v[44:45], v[124:125]
	v_add_f64 v[30:31], v[30:31], v[32:33]
	v_fmac_f64_e32 v[124:125], s[2:3], v[44:45]
	v_add_f64 v[32:33], v[208:209], v[210:211]
	v_fmac_f64_e32 v[212:213], v[114:115], v[236:237]
	v_fmac_f64_e32 v[108:109], s[4:5], v[40:41]
	;; [unrolled: 1-line block ×3, first 2 shown]
	v_fma_f64 v[32:33], -0.5, v[32:33], v[126:127]
	v_add_f64 v[40:41], v[138:139], -v[206:207]
	v_fma_f64 v[44:45], s[10:11], v[40:41], v[32:33]
	v_add_f64 v[48:49], v[140:141], -v[202:203]
	v_add_f64 v[82:83], v[204:205], -v[208:209]
	;; [unrolled: 1-line block ×3, first 2 shown]
	v_fmac_f64_e32 v[32:33], s[2:3], v[40:41]
	v_fmac_f64_e32 v[44:45], s[12:13], v[48:49]
	v_add_f64 v[82:83], v[82:83], v[84:85]
	v_fmac_f64_e32 v[32:33], s[4:5], v[48:49]
	v_fmac_f64_e32 v[44:45], s[8:9], v[82:83]
	;; [unrolled: 1-line block ×3, first 2 shown]
	v_add_f64 v[82:83], v[204:205], v[212:213]
	v_fmac_f64_e32 v[108:109], s[8:9], v[30:31]
	v_fmac_f64_e32 v[124:125], s[8:9], v[30:31]
	v_add_f64 v[30:31], v[126:127], v[204:205]
	v_fmac_f64_e32 v[126:127], -0.5, v[82:83]
	v_fma_f64 v[84:85], s[2:3], v[48:49], v[126:127]
	v_add_f64 v[82:83], v[208:209], -v[204:205]
	v_add_f64 v[86:87], v[210:211], -v[212:213]
	v_fmac_f64_e32 v[126:127], s[10:11], v[48:49]
	v_fmac_f64_e32 v[84:85], s[12:13], v[40:41]
	v_add_f64 v[82:83], v[82:83], v[86:87]
	v_fmac_f64_e32 v[126:127], s[4:5], v[40:41]
	v_add_f64 v[48:49], v[140:141], v[202:203]
	v_fmac_f64_e32 v[84:85], s[8:9], v[82:83]
	v_fmac_f64_e32 v[126:127], s[8:9], v[82:83]
	v_fma_f64 v[48:49], -0.5, v[48:49], v[128:129]
	v_add_f64 v[82:83], v[204:205], -v[212:213]
	v_fma_f64 v[88:89], s[2:3], v[82:83], v[48:49]
	v_add_f64 v[86:87], v[208:209], -v[210:211]
	v_add_f64 v[90:91], v[138:139], -v[140:141]
	;; [unrolled: 1-line block ×3, first 2 shown]
	v_fmac_f64_e32 v[48:49], s[10:11], v[82:83]
	v_fmac_f64_e32 v[88:89], s[4:5], v[86:87]
	v_add_f64 v[90:91], v[90:91], v[92:93]
	v_fmac_f64_e32 v[48:49], s[12:13], v[86:87]
	v_fmac_f64_e32 v[88:89], s[8:9], v[90:91]
	;; [unrolled: 1-line block ×3, first 2 shown]
	v_add_f64 v[90:91], v[138:139], v[206:207]
	v_add_f64 v[40:41], v[128:129], v[138:139]
	v_fmac_f64_e32 v[128:129], -0.5, v[90:91]
	v_fma_f64 v[100:101], s[10:11], v[86:87], v[128:129]
	v_add_f64 v[90:91], v[140:141], -v[138:139]
	v_add_f64 v[92:93], v[202:203], -v[206:207]
	v_fmac_f64_e32 v[100:101], s[4:5], v[82:83]
	v_add_f64 v[90:91], v[90:91], v[92:93]
	v_add_f64 v[40:41], v[40:41], v[140:141]
	v_fmac_f64_e32 v[100:101], s[8:9], v[90:91]
	v_add_f64 v[40:41], v[40:41], v[202:203]
	v_mul_f64 v[112:113], v[88:89], s[12:13]
	v_mul_f64 v[116:117], v[100:101], s[10:11]
	;; [unrolled: 1-line block ×5, first 2 shown]
	v_fmac_f64_e32 v[112:113], s[16:17], v[44:45]
	v_fmac_f64_e32 v[116:117], s[8:9], v[84:85]
	;; [unrolled: 1-line block ×3, first 2 shown]
	v_mul_f64 v[44:45], v[100:101], s[8:9]
	v_fmac_f64_e32 v[48:49], s[4:5], v[32:33]
	v_fmac_f64_e32 v[128:129], s[2:3], v[86:87]
	v_add_f64 v[94:95], v[110:111], v[112:113]
	v_add_f64 v[98:99], v[38:39], v[116:117]
	;; [unrolled: 1-line block ×3, first 2 shown]
	v_fmac_f64_e32 v[44:45], s[2:3], v[84:85]
	v_add_f64 v[84:85], v[2:3], v[48:49]
	v_add_f64 v[114:115], v[110:111], -v[112:113]
	v_add_f64 v[110:111], v[38:39], -v[116:117]
	;; [unrolled: 1-line block ×4, first 2 shown]
	v_add_f64 v[2:3], v[118:119], v[136:137]
	v_add_f64 v[30:31], v[30:31], v[208:209]
	v_fmac_f64_e32 v[128:129], s[12:13], v[82:83]
	v_add_f64 v[2:3], v[2:3], v[26:27]
	v_add_f64 v[30:31], v[30:31], v[210:211]
	v_fmac_f64_e32 v[128:129], s[8:9], v[90:91]
	v_add_f64 v[2:3], v[2:3], v[18:19]
	v_add_f64 v[30:31], v[30:31], v[212:213]
	v_mul_f64 v[138:139], v[128:129], s[10:11]
	v_fmac_f64_e32 v[140:141], s[20:21], v[32:33]
	v_mul_f64 v[204:205], v[128:129], s[18:19]
	v_add_f64 v[32:33], v[2:3], v[10:11]
	v_add_f64 v[2:3], v[26:27], v[18:19]
	;; [unrolled: 1-line block ×4, first 2 shown]
	v_fmac_f64_e32 v[138:139], s[18:19], v[126:127]
	v_fmac_f64_e32 v[204:205], s[2:3], v[126:127]
	v_add_f64 v[126:127], v[106:107], -v[30:31]
	v_fma_f64 v[30:31], -0.5, v[2:3], v[118:119]
	v_add_f64 v[2:3], v[134:135], -v[6:7]
	v_add_f64 v[86:87], v[122:123], v[138:139]
	v_add_f64 v[92:93], v[36:37], v[40:41]
	v_add_f64 v[106:107], v[122:123], -v[138:139]
	v_add_f64 v[128:129], v[36:37], -v[40:41]
	v_fma_f64 v[122:123], s[10:11], v[2:3], v[30:31]
	v_add_f64 v[36:37], v[22:23], -v[14:15]
	v_add_f64 v[38:39], v[136:137], -v[26:27]
	;; [unrolled: 1-line block ×3, first 2 shown]
	v_fmac_f64_e32 v[30:31], s[2:3], v[2:3]
	v_fmac_f64_e32 v[122:123], s[12:13], v[36:37]
	v_add_f64 v[38:39], v[38:39], v[40:41]
	v_fmac_f64_e32 v[30:31], s[4:5], v[36:37]
	v_fmac_f64_e32 v[122:123], s[8:9], v[38:39]
	;; [unrolled: 1-line block ×3, first 2 shown]
	v_add_f64 v[38:39], v[136:137], v[10:11]
	v_fmac_f64_e32 v[118:119], -0.5, v[38:39]
	v_fma_f64 v[38:39], s[2:3], v[36:37], v[118:119]
	v_fmac_f64_e32 v[118:119], s[10:11], v[36:37]
	v_fmac_f64_e32 v[38:39], s[12:13], v[2:3]
	;; [unrolled: 1-line block ×3, first 2 shown]
	v_add_f64 v[2:3], v[120:121], v[134:135]
	v_add_f64 v[2:3], v[2:3], v[22:23]
	v_add_f64 v[2:3], v[2:3], v[14:15]
	v_add_f64 v[100:101], v[108:109], v[44:45]
	v_add_f64 v[88:89], v[124:125], v[204:205]
	v_add_f64 v[112:113], v[108:109], -v[44:45]
	v_add_f64 v[108:109], v[124:125], -v[204:205]
	;; [unrolled: 1-line block ×4, first 2 shown]
	v_add_f64 v[124:125], v[2:3], v[6:7]
	v_add_f64 v[2:3], v[22:23], v[14:15]
	;; [unrolled: 1-line block ×3, first 2 shown]
	v_fma_f64 v[2:3], -0.5, v[2:3], v[120:121]
	v_add_f64 v[36:37], v[136:137], -v[10:11]
	v_fmac_f64_e32 v[38:39], s[8:9], v[40:41]
	v_fmac_f64_e32 v[118:119], s[8:9], v[40:41]
	v_fma_f64 v[10:11], s[2:3], v[36:37], v[2:3]
	v_add_f64 v[26:27], v[26:27], -v[18:19]
	v_add_f64 v[18:19], v[134:135], -v[22:23]
	;; [unrolled: 1-line block ×3, first 2 shown]
	v_fmac_f64_e32 v[2:3], s[10:11], v[36:37]
	v_fmac_f64_e32 v[10:11], s[4:5], v[26:27]
	v_add_f64 v[18:19], v[18:19], v[40:41]
	v_fmac_f64_e32 v[2:3], s[12:13], v[26:27]
	v_fmac_f64_e32 v[10:11], s[8:9], v[18:19]
	;; [unrolled: 1-line block ×3, first 2 shown]
	v_add_f64 v[18:19], v[134:135], v[6:7]
	v_fmac_f64_e32 v[120:121], -0.5, v[18:19]
	v_fma_f64 v[18:19], s[10:11], v[26:27], v[120:121]
	v_add_f64 v[22:23], v[22:23], -v[134:135]
	v_add_f64 v[6:7], v[14:15], -v[6:7]
	v_fmac_f64_e32 v[120:121], s[2:3], v[26:27]
	v_fmac_f64_e32 v[18:19], s[4:5], v[36:37]
	v_add_f64 v[6:7], v[22:23], v[6:7]
	v_fmac_f64_e32 v[120:121], s[12:13], v[36:37]
	v_fmac_f64_e32 v[18:19], s[8:9], v[6:7]
	;; [unrolled: 1-line block ×3, first 2 shown]
	v_add_f64 v[6:7], v[28:29], v[132:133]
	v_add_f64 v[6:7], v[6:7], v[20:21]
	;; [unrolled: 1-line block ×5, first 2 shown]
	v_fma_f64 v[40:41], -0.5, v[6:7], v[28:29]
	v_add_f64 v[6:7], v[24:25], -v[0:1]
	v_fma_f64 v[14:15], s[10:11], v[6:7], v[40:41]
	v_add_f64 v[22:23], v[16:17], -v[8:9]
	v_add_f64 v[26:27], v[132:133], -v[20:21]
	;; [unrolled: 1-line block ×3, first 2 shown]
	v_fmac_f64_e32 v[40:41], s[2:3], v[6:7]
	v_fmac_f64_e32 v[14:15], s[12:13], v[22:23]
	v_add_f64 v[26:27], v[26:27], v[44:45]
	v_fmac_f64_e32 v[40:41], s[4:5], v[22:23]
	v_fmac_f64_e32 v[14:15], s[8:9], v[26:27]
	;; [unrolled: 1-line block ×3, first 2 shown]
	v_add_f64 v[26:27], v[132:133], v[4:5]
	v_fmac_f64_e32 v[28:29], -0.5, v[26:27]
	v_fma_f64 v[26:27], s[2:3], v[22:23], v[28:29]
	v_fmac_f64_e32 v[28:29], s[10:11], v[22:23]
	v_fmac_f64_e32 v[26:27], s[12:13], v[6:7]
	;; [unrolled: 1-line block ×3, first 2 shown]
	v_add_f64 v[6:7], v[130:131], v[24:25]
	v_add_f64 v[44:45], v[20:21], -v[132:133]
	v_add_f64 v[48:49], v[12:13], -v[4:5]
	v_add_f64 v[6:7], v[6:7], v[16:17]
	v_add_f64 v[44:45], v[44:45], v[48:49]
	;; [unrolled: 1-line block ×3, first 2 shown]
	v_fmac_f64_e32 v[26:27], s[8:9], v[44:45]
	v_fmac_f64_e32 v[28:29], s[8:9], v[44:45]
	v_add_f64 v[44:45], v[6:7], v[0:1]
	v_add_f64 v[6:7], v[16:17], v[8:9]
	v_fma_f64 v[48:49], -0.5, v[6:7], v[130:131]
	v_add_f64 v[4:5], v[132:133], -v[4:5]
	v_fma_f64 v[22:23], s[2:3], v[4:5], v[48:49]
	v_add_f64 v[6:7], v[20:21], -v[12:13]
	v_add_f64 v[12:13], v[24:25], -v[16:17]
	;; [unrolled: 1-line block ×3, first 2 shown]
	v_fmac_f64_e32 v[48:49], s[10:11], v[4:5]
	v_fmac_f64_e32 v[22:23], s[4:5], v[6:7]
	v_add_f64 v[12:13], v[12:13], v[20:21]
	v_fmac_f64_e32 v[48:49], s[12:13], v[6:7]
	v_fmac_f64_e32 v[22:23], s[8:9], v[12:13]
	;; [unrolled: 1-line block ×3, first 2 shown]
	v_add_f64 v[12:13], v[24:25], v[0:1]
	v_fmac_f64_e32 v[130:131], -0.5, v[12:13]
	v_fma_f64 v[134:135], s[10:11], v[6:7], v[130:131]
	v_add_f64 v[12:13], v[16:17], -v[24:25]
	v_add_f64 v[0:1], v[8:9], -v[0:1]
	v_fmac_f64_e32 v[130:131], s[2:3], v[6:7]
	v_fmac_f64_e32 v[134:135], s[4:5], v[4:5]
	v_add_f64 v[0:1], v[12:13], v[0:1]
	v_fmac_f64_e32 v[130:131], s[12:13], v[4:5]
	v_fmac_f64_e32 v[134:135], s[8:9], v[0:1]
	;; [unrolled: 1-line block ×3, first 2 shown]
	v_add_f64 v[82:83], v[102:103], v[140:141]
	v_add_f64 v[102:103], v[102:103], -v[140:141]
	v_mul_f64 v[0:1], v[22:23], s[12:13]
	v_mul_f64 v[16:17], v[134:135], s[10:11]
	;; [unrolled: 1-line block ×8, first 2 shown]
	v_fmac_f64_e32 v[0:1], s[16:17], v[14:15]
	v_fmac_f64_e32 v[16:17], s[8:9], v[26:27]
	;; [unrolled: 1-line block ×8, first 2 shown]
	v_add_f64 v[4:5], v[32:33], v[36:37]
	v_add_f64 v[12:13], v[122:123], v[0:1]
	;; [unrolled: 1-line block ×10, first 2 shown]
	v_add_f64 v[28:29], v[32:33], -v[36:37]
	v_add_f64 v[8:9], v[122:123], -v[0:1]
	;; [unrolled: 1-line block ×10, first 2 shown]
	s_barrier
	ds_write_b128 v42, v[90:93]
	ds_write_b128 v42, v[94:97] offset:1024
	ds_write_b128 v42, v[98:101] offset:2048
	;; [unrolled: 1-line block ×9, first 2 shown]
	ds_write_b128 v34, v[4:7]
	ds_write_b128 v34, v[12:15] offset:1024
	ds_write_b128 v34, v[20:23] offset:2048
	;; [unrolled: 1-line block ×9, first 2 shown]
	s_waitcnt lgkmcnt(0)
	s_barrier
	ds_read_b128 v[0:3], v35
	ds_read_b128 v[16:19], v35 offset:10240
	ds_read_b128 v[20:23], v35 offset:20480
	;; [unrolled: 1-line block ×19, first 2 shown]
	s_waitcnt lgkmcnt(14)
	v_mul_f64 v[32:33], v[148:149], v[18:19]
	v_fmac_f64_e32 v[32:33], v[146:147], v[16:17]
	v_mul_f64 v[16:17], v[148:149], v[16:17]
	v_fma_f64 v[16:17], v[146:147], v[18:19], -v[16:17]
	v_mul_f64 v[18:19], v[152:153], v[22:23]
	v_fmac_f64_e32 v[18:19], v[150:151], v[20:21]
	v_mul_f64 v[20:21], v[152:153], v[20:21]
	v_fma_f64 v[20:21], v[150:151], v[22:23], -v[20:21]
	v_mul_f64 v[22:23], v[144:145], v[26:27]
	v_fmac_f64_e32 v[22:23], v[142:143], v[24:25]
	v_mul_f64 v[24:25], v[144:145], v[24:25]
	v_fma_f64 v[24:25], v[142:143], v[26:27], -v[24:25]
	v_mul_f64 v[36:37], v[160:161], v[30:31]
	v_mul_f64 v[26:27], v[160:161], v[28:29]
	v_fmac_f64_e32 v[36:37], v[158:159], v[28:29]
	v_fma_f64 v[28:29], v[158:159], v[30:31], -v[26:27]
	s_waitcnt lgkmcnt(13)
	v_mul_f64 v[26:27], v[164:165], v[82:83]
	v_fma_f64 v[38:39], v[162:163], v[84:85], -v[26:27]
	s_waitcnt lgkmcnt(12)
	v_mul_f64 v[26:27], v[156:157], v[86:87]
	;; [unrolled: 3-line block ×3, first 2 shown]
	v_mul_f64 v[26:27], v[176:177], v[90:91]
	v_fmac_f64_e32 v[48:49], v[174:175], v[90:91]
	v_fma_f64 v[90:91], v[174:175], v[92:93], -v[26:27]
	s_waitcnt lgkmcnt(9)
	v_mul_f64 v[92:93], v[172:173], v[96:97]
	v_mul_f64 v[26:27], v[172:173], v[94:95]
	v_fmac_f64_e32 v[92:93], v[170:171], v[94:95]
	v_fma_f64 v[94:95], v[170:171], v[96:97], -v[26:27]
	s_waitcnt lgkmcnt(8)
	v_mul_f64 v[96:97], v[168:169], v[100:101]
	;; [unrolled: 5-line block ×7, first 2 shown]
	v_mul_f64 v[26:27], v[196:197], v[122:123]
	v_mul_f64 v[30:31], v[164:165], v[84:85]
	v_fmac_f64_e32 v[120:121], v[194:195], v[122:123]
	v_fma_f64 v[122:123], v[194:195], v[124:125], -v[26:27]
	s_waitcnt lgkmcnt(0)
	v_mul_f64 v[124:125], v[192:193], v[128:129]
	v_mul_f64 v[26:27], v[192:193], v[126:127]
	v_fmac_f64_e32 v[30:31], v[162:163], v[82:83]
	v_fmac_f64_e32 v[124:125], v[190:191], v[126:127]
	v_fma_f64 v[126:127], v[190:191], v[128:129], -v[26:27]
	v_add_f64 v[26:27], v[0:1], -v[18:19]
	v_add_f64 v[82:83], v[2:3], -v[20:21]
	;; [unrolled: 1-line block ×4, first 2 shown]
	v_mul_f64 v[40:41], v[156:157], v[88:89]
	v_fma_f64 v[18:19], v[0:1], 2.0, -v[26:27]
	v_fma_f64 v[20:21], v[2:3], 2.0, -v[82:83]
	;; [unrolled: 1-line block ×4, first 2 shown]
	v_fmac_f64_e32 v[40:41], v[154:155], v[86:87]
	v_add_f64 v[0:1], v[18:19], -v[0:1]
	v_add_f64 v[2:3], v[20:21], -v[2:3]
	v_fma_f64 v[16:17], v[18:19], 2.0, -v[0:1]
	v_fma_f64 v[18:19], v[20:21], 2.0, -v[2:3]
	v_add_f64 v[20:21], v[26:27], v[24:25]
	v_add_f64 v[22:23], v[82:83], -v[22:23]
	v_add_f64 v[32:33], v[8:9], -v[30:31]
	;; [unrolled: 1-line block ×5, first 2 shown]
	v_fma_f64 v[24:25], v[26:27], 2.0, -v[20:21]
	v_fma_f64 v[26:27], v[82:83], 2.0, -v[22:23]
	;; [unrolled: 1-line block ×6, first 2 shown]
	v_add_f64 v[8:9], v[30:31], -v[8:9]
	v_add_f64 v[10:11], v[82:83], -v[10:11]
	v_fma_f64 v[28:29], v[30:31], 2.0, -v[8:9]
	v_fma_f64 v[30:31], v[82:83], 2.0, -v[10:11]
	v_add_f64 v[82:83], v[32:33], v[44:45]
	v_add_f64 v[84:85], v[38:39], -v[40:41]
	v_fma_f64 v[86:87], v[32:33], 2.0, -v[82:83]
	v_add_f64 v[32:33], v[4:5], -v[92:93]
	v_add_f64 v[36:37], v[6:7], -v[94:95]
	;; [unrolled: 1-line block ×4, first 2 shown]
	v_fma_f64 v[88:89], v[38:39], 2.0, -v[84:85]
	v_fma_f64 v[38:39], v[4:5], 2.0, -v[32:33]
	;; [unrolled: 1-line block ×5, first 2 shown]
	v_add_f64 v[94:95], v[32:33], v[94:95]
	v_add_f64 v[96:97], v[36:37], -v[44:45]
	v_add_f64 v[4:5], v[38:39], -v[4:5]
	;; [unrolled: 1-line block ×3, first 2 shown]
	v_fma_f64 v[98:99], v[32:33], 2.0, -v[94:95]
	v_fma_f64 v[100:101], v[36:37], 2.0, -v[96:97]
	v_add_f64 v[32:33], v[12:13], -v[104:105]
	v_add_f64 v[36:37], v[14:15], -v[106:107]
	v_add_f64 v[44:45], v[130:131], -v[108:109]
	v_add_f64 v[48:49], v[102:103], -v[110:111]
	v_fma_f64 v[90:91], v[38:39], 2.0, -v[4:5]
	v_fma_f64 v[92:93], v[40:41], 2.0, -v[6:7]
	;; [unrolled: 1-line block ×6, first 2 shown]
	v_add_f64 v[106:107], v[32:33], v[48:49]
	v_add_f64 v[108:109], v[36:37], -v[44:45]
	v_add_f64 v[12:13], v[38:39], -v[12:13]
	;; [unrolled: 1-line block ×3, first 2 shown]
	v_fma_f64 v[110:111], v[32:33], 2.0, -v[106:107]
	v_fma_f64 v[112:113], v[36:37], 2.0, -v[108:109]
	v_add_f64 v[32:33], v[114:115], -v[120:121]
	v_add_f64 v[36:37], v[116:117], -v[122:123]
	;; [unrolled: 1-line block ×4, first 2 shown]
	v_fma_f64 v[102:103], v[38:39], 2.0, -v[12:13]
	v_fma_f64 v[104:105], v[40:41], 2.0, -v[14:15]
	;; [unrolled: 1-line block ×6, first 2 shown]
	v_add_f64 v[114:115], v[38:39], -v[114:115]
	v_add_f64 v[116:117], v[40:41], -v[116:117]
	v_add_f64 v[122:123], v[32:33], v[48:49]
	v_add_f64 v[124:125], v[36:37], -v[44:45]
	v_fma_f64 v[118:119], v[38:39], 2.0, -v[114:115]
	v_fma_f64 v[120:121], v[40:41], 2.0, -v[116:117]
	;; [unrolled: 1-line block ×4, first 2 shown]
	ds_write_b128 v35, v[16:19]
	ds_write_b128 v35, v[24:27] offset:10240
	ds_write_b128 v35, v[0:3] offset:20480
	;; [unrolled: 1-line block ×19, first 2 shown]
	s_waitcnt lgkmcnt(0)
	s_barrier
	ds_read_b128 v[0:3], v35
	v_accvgpr_read_b32 v6, a20
	v_accvgpr_read_b32 v8, a22
	;; [unrolled: 1-line block ×4, first 2 shown]
	s_waitcnt lgkmcnt(0)
	v_mul_f64 v[4:5], v[8:9], v[2:3]
	v_fmac_f64_e32 v[4:5], v[6:7], v[0:1]
	s_mov_b32 s2, 0x9999999a
	v_mul_f64 v[0:1], v[8:9], v[0:1]
	s_mov_b32 s3, 0x3f399999
	v_fma_f64 v[0:1], v[6:7], v[2:3], -v[0:1]
	v_mul_f64 v[6:7], v[0:1], s[2:3]
	v_mad_u64_u32 v[0:1], s[4:5], s0, v43, 0
	v_mov_b32_e32 v2, v1
	v_mad_u64_u32 v[2:3], s[4:5], s1, v43, v[2:3]
	v_mov_b32_e32 v1, v2
	v_accvgpr_read_b32 v3, a1
	v_accvgpr_read_b32 v9, a3
	;; [unrolled: 1-line block ×4, first 2 shown]
	v_lshl_add_u64 v[2:3], v[8:9], 4, v[2:3]
	v_lshl_add_u64 v[8:9], v[0:1], 4, v[2:3]
	ds_read_b128 v[0:3], v35 offset:10240
	v_accvgpr_read_b32 v10, a28
	v_mul_f64 v[4:5], v[4:5], s[2:3]
	v_accvgpr_read_b32 v12, a30
	v_accvgpr_read_b32 v13, a31
	global_store_dwordx4 v[8:9], v[4:7], off
	v_accvgpr_read_b32 v11, a29
	v_mad_u64_u32 v[8:9], s[4:5], s0, v46, v[8:9]
	s_waitcnt lgkmcnt(0)
	v_mul_f64 v[4:5], v[12:13], v[2:3]
	v_fmac_f64_e32 v[4:5], v[10:11], v[0:1]
	v_mul_f64 v[0:1], v[12:13], v[0:1]
	v_fma_f64 v[0:1], v[10:11], v[2:3], -v[0:1]
	v_mul_f64 v[6:7], v[0:1], s[2:3]
	ds_read_b128 v[0:3], v35 offset:20480
	s_mul_i32 s4, s1, 0x2800
	v_accvgpr_read_b32 v10, a36
	v_mul_f64 v[4:5], v[4:5], s[2:3]
	v_add_u32_e32 v9, s4, v9
	v_accvgpr_read_b32 v12, a38
	v_accvgpr_read_b32 v13, a39
	global_store_dwordx4 v[8:9], v[4:7], off
	v_accvgpr_read_b32 v11, a37
	v_mad_u64_u32 v[8:9], s[6:7], s0, v46, v[8:9]
	s_waitcnt lgkmcnt(0)
	v_mul_f64 v[4:5], v[12:13], v[2:3]
	v_fmac_f64_e32 v[4:5], v[10:11], v[0:1]
	v_mul_f64 v[0:1], v[12:13], v[0:1]
	v_fma_f64 v[0:1], v[10:11], v[2:3], -v[0:1]
	v_mul_f64 v[6:7], v[0:1], s[2:3]
	ds_read_b128 v[0:3], v35 offset:30720
	v_accvgpr_read_b32 v10, a40
	v_mul_f64 v[4:5], v[4:5], s[2:3]
	v_add_u32_e32 v9, s4, v9
	v_accvgpr_read_b32 v12, a42
	v_accvgpr_read_b32 v13, a43
	global_store_dwordx4 v[8:9], v[4:7], off
	v_accvgpr_read_b32 v11, a41
	v_mad_u64_u32 v[8:9], s[6:7], s0, v46, v[8:9]
	s_waitcnt lgkmcnt(0)
	v_mul_f64 v[4:5], v[12:13], v[2:3]
	v_fmac_f64_e32 v[4:5], v[10:11], v[0:1]
	v_mul_f64 v[0:1], v[12:13], v[0:1]
	v_fma_f64 v[0:1], v[10:11], v[2:3], -v[0:1]
	v_mul_f64 v[6:7], v[0:1], s[2:3]
	ds_read_b128 v[0:3], v35 offset:2048
	v_accvgpr_read_b32 v10, a12
	v_mul_f64 v[4:5], v[4:5], s[2:3]
	v_add_u32_e32 v9, s4, v9
	v_accvgpr_read_b32 v12, a14
	v_accvgpr_read_b32 v13, a15
	global_store_dwordx4 v[8:9], v[4:7], off
	v_accvgpr_read_b32 v11, a13
	s_mulk_i32 s1, 0x9000
	s_waitcnt lgkmcnt(0)
	v_mul_f64 v[4:5], v[12:13], v[2:3]
	v_fmac_f64_e32 v[4:5], v[10:11], v[0:1]
	v_mul_f64 v[0:1], v[12:13], v[0:1]
	v_fma_f64 v[0:1], v[10:11], v[2:3], -v[0:1]
	v_mul_f64 v[6:7], v[0:1], s[2:3]
	ds_read_b128 v[0:3], v35 offset:12288
	v_mov_b32_e32 v10, 0xffff9000
	v_mad_u64_u32 v[8:9], s[6:7], s0, v10, v[8:9]
	s_sub_i32 s1, s1, s0
	v_accvgpr_read_b32 v15, a7
	v_mul_f64 v[4:5], v[4:5], s[2:3]
	v_add_u32_e32 v9, s1, v9
	v_accvgpr_read_b32 v14, a6
	global_store_dwordx4 v[8:9], v[4:7], off
	v_accvgpr_read_b32 v13, a5
	v_accvgpr_read_b32 v12, a4
	s_waitcnt lgkmcnt(0)
	v_mul_f64 v[4:5], v[14:15], v[2:3]
	v_fmac_f64_e32 v[4:5], v[12:13], v[0:1]
	v_mul_f64 v[0:1], v[14:15], v[0:1]
	v_fma_f64 v[0:1], v[12:13], v[2:3], -v[0:1]
	v_mul_f64 v[6:7], v[0:1], s[2:3]
	ds_read_b128 v[0:3], v35 offset:22528
	v_mad_u64_u32 v[8:9], s[6:7], s0, v46, v[8:9]
	v_accvgpr_read_b32 v15, a11
	v_mul_f64 v[4:5], v[4:5], s[2:3]
	v_add_u32_e32 v9, s4, v9
	v_accvgpr_read_b32 v14, a10
	global_store_dwordx4 v[8:9], v[4:7], off
	v_accvgpr_read_b32 v13, a9
	v_accvgpr_read_b32 v12, a8
	s_waitcnt lgkmcnt(0)
	v_mul_f64 v[4:5], v[14:15], v[2:3]
	v_fmac_f64_e32 v[4:5], v[12:13], v[0:1]
	v_mul_f64 v[0:1], v[14:15], v[0:1]
	v_fma_f64 v[0:1], v[12:13], v[2:3], -v[0:1]
	v_mul_f64 v[6:7], v[0:1], s[2:3]
	ds_read_b128 v[0:3], v35 offset:32768
	v_mad_u64_u32 v[8:9], s[6:7], s0, v46, v[8:9]
	v_accvgpr_read_b32 v12, a16
	v_mul_f64 v[4:5], v[4:5], s[2:3]
	v_add_u32_e32 v9, s4, v9
	v_accvgpr_read_b32 v14, a18
	v_accvgpr_read_b32 v15, a19
	global_store_dwordx4 v[8:9], v[4:7], off
	v_accvgpr_read_b32 v13, a17
	v_mad_u64_u32 v[8:9], s[6:7], s0, v46, v[8:9]
	s_waitcnt lgkmcnt(0)
	v_mul_f64 v[4:5], v[14:15], v[2:3]
	v_fmac_f64_e32 v[4:5], v[12:13], v[0:1]
	v_mul_f64 v[0:1], v[14:15], v[0:1]
	v_fma_f64 v[0:1], v[12:13], v[2:3], -v[0:1]
	v_mul_f64 v[6:7], v[0:1], s[2:3]
	ds_read_b128 v[0:3], v35 offset:4096
	v_mul_f64 v[4:5], v[4:5], s[2:3]
	v_add_u32_e32 v9, s4, v9
	global_store_dwordx4 v[8:9], v[4:7], off
	v_mad_u64_u32 v[8:9], s[6:7], s0, v10, v[8:9]
	s_waitcnt lgkmcnt(0)
	v_mul_f64 v[4:5], v[52:53], v[2:3]
	v_fmac_f64_e32 v[4:5], v[50:51], v[0:1]
	v_mul_f64 v[0:1], v[52:53], v[0:1]
	v_fma_f64 v[0:1], v[50:51], v[2:3], -v[0:1]
	v_mul_f64 v[6:7], v[0:1], s[2:3]
	ds_read_b128 v[0:3], v35 offset:14336
	v_mul_f64 v[4:5], v[4:5], s[2:3]
	v_add_u32_e32 v9, s1, v9
	global_store_dwordx4 v[8:9], v[4:7], off
	;; [unrolled: 11-line block ×5, first 2 shown]
	v_mov_b32_e32 v10, 0xffff9000
	v_mad_u64_u32 v[8:9], s[6:7], s0, v10, v[8:9]
	s_waitcnt lgkmcnt(0)
	v_mul_f64 v[4:5], v[68:69], v[2:3]
	v_fmac_f64_e32 v[4:5], v[66:67], v[0:1]
	v_mul_f64 v[0:1], v[68:69], v[0:1]
	v_fma_f64 v[0:1], v[66:67], v[2:3], -v[0:1]
	v_mul_f64 v[6:7], v[0:1], s[2:3]
	ds_read_b128 v[0:3], v35 offset:16384
	v_mul_f64 v[4:5], v[4:5], s[2:3]
	v_add_u32_e32 v9, s1, v9
	global_store_dwordx4 v[8:9], v[4:7], off
	v_mad_u64_u32 v[8:9], s[6:7], s0, v46, v[8:9]
	s_waitcnt lgkmcnt(0)
	v_mul_f64 v[4:5], v[72:73], v[2:3]
	v_fmac_f64_e32 v[4:5], v[70:71], v[0:1]
	v_mul_f64 v[0:1], v[72:73], v[0:1]
	v_fma_f64 v[0:1], v[70:71], v[2:3], -v[0:1]
	v_mul_f64 v[6:7], v[0:1], s[2:3]
	ds_read_b128 v[0:3], v35 offset:26624
	v_mul_f64 v[4:5], v[4:5], s[2:3]
	v_add_u32_e32 v9, s4, v9
	global_store_dwordx4 v[8:9], v[4:7], off
	;; [unrolled: 11-line block ×3, first 2 shown]
	v_accvgpr_read_b32 v12, a44
	v_accvgpr_read_b32 v14, a46
	s_waitcnt lgkmcnt(0)
	v_mul_f64 v[4:5], v[80:81], v[2:3]
	v_fmac_f64_e32 v[4:5], v[78:79], v[0:1]
	v_mul_f64 v[0:1], v[80:81], v[0:1]
	v_fma_f64 v[0:1], v[78:79], v[2:3], -v[0:1]
	v_mul_f64 v[6:7], v[0:1], s[2:3]
	v_mad_u64_u32 v[0:1], s[6:7], s0, v46, v[8:9]
	v_mul_f64 v[4:5], v[4:5], s[2:3]
	v_add_u32_e32 v1, s4, v1
	global_store_dwordx4 v[0:1], v[4:7], off
	ds_read_b128 v[2:5], v35 offset:8192
	v_accvgpr_read_b32 v15, a47
	v_accvgpr_read_b32 v13, a45
	v_mad_u64_u32 v[10:11], s[6:7], s0, v10, v[0:1]
	s_waitcnt lgkmcnt(0)
	v_mul_f64 v[6:7], v[14:15], v[4:5]
	v_fmac_f64_e32 v[6:7], v[12:13], v[2:3]
	v_mul_f64 v[2:3], v[14:15], v[2:3]
	v_fma_f64 v[2:3], v[12:13], v[4:5], -v[2:3]
	v_mul_f64 v[8:9], v[2:3], s[2:3]
	ds_read_b128 v[0:3], v35 offset:18432
	v_mul_f64 v[6:7], v[6:7], s[2:3]
	v_add_u32_e32 v11, s1, v11
	global_store_dwordx4 v[10:11], v[6:9], off
	s_nop 1
	v_accvgpr_read_b32 v6, a48
	v_accvgpr_read_b32 v8, a50
	;; [unrolled: 1-line block ×4, first 2 shown]
	s_waitcnt lgkmcnt(0)
	v_mul_f64 v[4:5], v[8:9], v[2:3]
	v_fmac_f64_e32 v[4:5], v[6:7], v[0:1]
	v_mul_f64 v[0:1], v[8:9], v[0:1]
	v_fma_f64 v[0:1], v[6:7], v[2:3], -v[0:1]
	v_mul_f64 v[6:7], v[0:1], s[2:3]
	ds_read_b128 v[0:3], v35 offset:28672
	v_mad_u64_u32 v[8:9], s[6:7], s0, v46, v[10:11]
	v_accvgpr_read_b32 v10, a32
	v_mul_f64 v[4:5], v[4:5], s[2:3]
	v_add_u32_e32 v9, s4, v9
	v_accvgpr_read_b32 v12, a34
	v_accvgpr_read_b32 v13, a35
	global_store_dwordx4 v[8:9], v[4:7], off
	v_accvgpr_read_b32 v11, a33
	s_waitcnt lgkmcnt(0)
	v_mul_f64 v[4:5], v[12:13], v[2:3]
	v_fmac_f64_e32 v[4:5], v[10:11], v[0:1]
	v_mul_f64 v[0:1], v[12:13], v[0:1]
	v_fma_f64 v[0:1], v[10:11], v[2:3], -v[0:1]
	v_mul_f64 v[6:7], v[0:1], s[2:3]
	v_mad_u64_u32 v[0:1], s[6:7], s0, v46, v[8:9]
	v_mul_f64 v[4:5], v[4:5], s[2:3]
	v_add_u32_e32 v1, s4, v1
	global_store_dwordx4 v[0:1], v[4:7], off
	ds_read_b128 v[2:5], v35 offset:38912
	v_accvgpr_read_b32 v8, a24
	v_accvgpr_read_b32 v10, a26
	;; [unrolled: 1-line block ×4, first 2 shown]
	s_waitcnt lgkmcnt(0)
	v_mul_f64 v[6:7], v[10:11], v[4:5]
	v_fmac_f64_e32 v[6:7], v[8:9], v[2:3]
	v_mul_f64 v[2:3], v[10:11], v[2:3]
	v_fma_f64 v[2:3], v[8:9], v[4:5], -v[2:3]
	v_mad_u64_u32 v[0:1], s[0:1], s0, v46, v[0:1]
	v_mul_f64 v[6:7], v[6:7], s[2:3]
	v_mul_f64 v[8:9], v[2:3], s[2:3]
	v_add_u32_e32 v1, s4, v1
	global_store_dwordx4 v[0:1], v[6:9], off
.LBB0_2:
	s_endpgm
	.section	.rodata,"a",@progbits
	.p2align	6, 0x0
	.amdhsa_kernel bluestein_single_back_len2560_dim1_dp_op_CI_CI
		.amdhsa_group_segment_fixed_size 40960
		.amdhsa_private_segment_fixed_size 0
		.amdhsa_kernarg_size 104
		.amdhsa_user_sgpr_count 2
		.amdhsa_user_sgpr_dispatch_ptr 0
		.amdhsa_user_sgpr_queue_ptr 0
		.amdhsa_user_sgpr_kernarg_segment_ptr 1
		.amdhsa_user_sgpr_dispatch_id 0
		.amdhsa_user_sgpr_kernarg_preload_length 0
		.amdhsa_user_sgpr_kernarg_preload_offset 0
		.amdhsa_user_sgpr_private_segment_size 0
		.amdhsa_uses_dynamic_stack 0
		.amdhsa_enable_private_segment 0
		.amdhsa_system_sgpr_workgroup_id_x 1
		.amdhsa_system_sgpr_workgroup_id_y 0
		.amdhsa_system_sgpr_workgroup_id_z 0
		.amdhsa_system_sgpr_workgroup_info 0
		.amdhsa_system_vgpr_workitem_id 0
		.amdhsa_next_free_vgpr 338
		.amdhsa_next_free_sgpr 26
		.amdhsa_accum_offset 256
		.amdhsa_reserve_vcc 1
		.amdhsa_float_round_mode_32 0
		.amdhsa_float_round_mode_16_64 0
		.amdhsa_float_denorm_mode_32 3
		.amdhsa_float_denorm_mode_16_64 3
		.amdhsa_dx10_clamp 1
		.amdhsa_ieee_mode 1
		.amdhsa_fp16_overflow 0
		.amdhsa_tg_split 0
		.amdhsa_exception_fp_ieee_invalid_op 0
		.amdhsa_exception_fp_denorm_src 0
		.amdhsa_exception_fp_ieee_div_zero 0
		.amdhsa_exception_fp_ieee_overflow 0
		.amdhsa_exception_fp_ieee_underflow 0
		.amdhsa_exception_fp_ieee_inexact 0
		.amdhsa_exception_int_div_zero 0
	.end_amdhsa_kernel
	.text
.Lfunc_end0:
	.size	bluestein_single_back_len2560_dim1_dp_op_CI_CI, .Lfunc_end0-bluestein_single_back_len2560_dim1_dp_op_CI_CI
                                        ; -- End function
	.section	.AMDGPU.csdata,"",@progbits
; Kernel info:
; codeLenInByte = 22856
; NumSgprs: 32
; NumVgprs: 256
; NumAgprs: 82
; TotalNumVgprs: 338
; ScratchSize: 0
; MemoryBound: 0
; FloatMode: 240
; IeeeMode: 1
; LDSByteSize: 40960 bytes/workgroup (compile time only)
; SGPRBlocks: 3
; VGPRBlocks: 42
; NumSGPRsForWavesPerEU: 32
; NumVGPRsForWavesPerEU: 338
; AccumOffset: 256
; Occupancy: 1
; WaveLimiterHint : 1
; COMPUTE_PGM_RSRC2:SCRATCH_EN: 0
; COMPUTE_PGM_RSRC2:USER_SGPR: 2
; COMPUTE_PGM_RSRC2:TRAP_HANDLER: 0
; COMPUTE_PGM_RSRC2:TGID_X_EN: 1
; COMPUTE_PGM_RSRC2:TGID_Y_EN: 0
; COMPUTE_PGM_RSRC2:TGID_Z_EN: 0
; COMPUTE_PGM_RSRC2:TIDIG_COMP_CNT: 0
; COMPUTE_PGM_RSRC3_GFX90A:ACCUM_OFFSET: 63
; COMPUTE_PGM_RSRC3_GFX90A:TG_SPLIT: 0
	.text
	.p2alignl 6, 3212836864
	.fill 256, 4, 3212836864
	.type	__hip_cuid_4c9802c8c8b4b317,@object ; @__hip_cuid_4c9802c8c8b4b317
	.section	.bss,"aw",@nobits
	.globl	__hip_cuid_4c9802c8c8b4b317
__hip_cuid_4c9802c8c8b4b317:
	.byte	0                               ; 0x0
	.size	__hip_cuid_4c9802c8c8b4b317, 1

	.ident	"AMD clang version 19.0.0git (https://github.com/RadeonOpenCompute/llvm-project roc-6.4.0 25133 c7fe45cf4b819c5991fe208aaa96edf142730f1d)"
	.section	".note.GNU-stack","",@progbits
	.addrsig
	.addrsig_sym __hip_cuid_4c9802c8c8b4b317
	.amdgpu_metadata
---
amdhsa.kernels:
  - .agpr_count:     82
    .args:
      - .actual_access:  read_only
        .address_space:  global
        .offset:         0
        .size:           8
        .value_kind:     global_buffer
      - .actual_access:  read_only
        .address_space:  global
        .offset:         8
        .size:           8
        .value_kind:     global_buffer
      - .actual_access:  read_only
        .address_space:  global
        .offset:         16
        .size:           8
        .value_kind:     global_buffer
      - .actual_access:  read_only
        .address_space:  global
        .offset:         24
        .size:           8
        .value_kind:     global_buffer
      - .actual_access:  read_only
        .address_space:  global
        .offset:         32
        .size:           8
        .value_kind:     global_buffer
      - .offset:         40
        .size:           8
        .value_kind:     by_value
      - .address_space:  global
        .offset:         48
        .size:           8
        .value_kind:     global_buffer
      - .address_space:  global
        .offset:         56
        .size:           8
        .value_kind:     global_buffer
      - .address_space:  global
        .offset:         64
        .size:           8
        .value_kind:     global_buffer
      - .address_space:  global
        .offset:         72
        .size:           8
        .value_kind:     global_buffer
      - .offset:         80
        .size:           4
        .value_kind:     by_value
      - .address_space:  global
        .offset:         88
        .size:           8
        .value_kind:     global_buffer
      - .address_space:  global
        .offset:         96
        .size:           8
        .value_kind:     global_buffer
    .group_segment_fixed_size: 40960
    .kernarg_segment_align: 8
    .kernarg_segment_size: 104
    .language:       OpenCL C
    .language_version:
      - 2
      - 0
    .max_flat_workgroup_size: 128
    .name:           bluestein_single_back_len2560_dim1_dp_op_CI_CI
    .private_segment_fixed_size: 0
    .sgpr_count:     32
    .sgpr_spill_count: 0
    .symbol:         bluestein_single_back_len2560_dim1_dp_op_CI_CI.kd
    .uniform_work_group_size: 1
    .uses_dynamic_stack: false
    .vgpr_count:     338
    .vgpr_spill_count: 0
    .wavefront_size: 64
amdhsa.target:   amdgcn-amd-amdhsa--gfx950
amdhsa.version:
  - 1
  - 2
...

	.end_amdgpu_metadata
